;; amdgpu-corpus repo=ROCm/rocFFT kind=compiled arch=gfx1030 opt=O3
	.text
	.amdgcn_target "amdgcn-amd-amdhsa--gfx1030"
	.amdhsa_code_object_version 6
	.protected	bluestein_single_back_len1445_dim1_half_op_CI_CI ; -- Begin function bluestein_single_back_len1445_dim1_half_op_CI_CI
	.globl	bluestein_single_back_len1445_dim1_half_op_CI_CI
	.p2align	8
	.type	bluestein_single_back_len1445_dim1_half_op_CI_CI,@function
bluestein_single_back_len1445_dim1_half_op_CI_CI: ; @bluestein_single_back_len1445_dim1_half_op_CI_CI
; %bb.0:
	s_load_dwordx4 s[12:15], s[4:5], 0x28
	v_mul_u32_u24_e32 v1, 0x304, v0
	v_mov_b32_e32 v33, 0
	s_mov_b32 s0, exec_lo
	v_lshrrev_b32_e32 v1, 16, v1
	v_add_nc_u32_e32 v32, s6, v1
	s_waitcnt lgkmcnt(0)
	v_cmpx_gt_u64_e64 s[12:13], v[32:33]
	s_cbranch_execz .LBB0_10
; %bb.1:
	s_clause 0x1
	s_load_dwordx4 s[8:11], s[4:5], 0x18
	s_load_dwordx4 s[0:3], s[4:5], 0x0
	v_mul_lo_u16 v1, 0x55, v1
	v_mov_b32_e32 v14, 0xb5c8
	v_mov_b32_e32 v16, 0xbb29
	;; [unrolled: 1-line block ×4, first 2 shown]
	v_sub_nc_u16 v8, v0, v1
	v_mov_b32_e32 v69, 0x3bb2
	v_mov_b32_e32 v70, 0x31e1
	;; [unrolled: 1-line block ×3, first 2 shown]
	s_load_dwordx2 s[4:5], s[4:5], 0x38
	v_and_b32_e32 v63, 0xffff, v8
	v_lshlrev_b32_e32 v47, 2, v63
	s_waitcnt lgkmcnt(0)
	s_load_dwordx4 s[16:19], s[8:9], 0x0
	v_add_co_u32 v37, s6, s0, v47
	v_add_co_ci_u32_e64 v38, null, s1, 0, s6
	v_add_nc_u32_e32 v9, 0x400, v47
	v_add_nc_u32_e32 v11, 0x800, v47
	;; [unrolled: 1-line block ×4, first 2 shown]
	s_waitcnt lgkmcnt(0)
	v_mad_u64_u32 v[0:1], null, s18, v32, 0
	v_mad_u64_u32 v[2:3], null, s16, v63, 0
	s_mul_i32 s7, s17, 0x154
	s_mul_hi_u32 s8, s16, 0x154
	s_mul_i32 s6, s16, 0x154
	s_add_i32 s7, s8, s7
	v_mad_u64_u32 v[4:5], null, s19, v32, v[1:2]
	v_mad_u64_u32 v[5:6], null, s17, v63, v[3:4]
	v_mov_b32_e32 v1, v4
	v_lshlrev_b64 v[0:1], 2, v[0:1]
	v_mov_b32_e32 v3, v5
	v_add_co_u32 v0, vcc_lo, s14, v0
	v_lshlrev_b64 v[2:3], 2, v[2:3]
	v_add_co_ci_u32_e32 v1, vcc_lo, s15, v1, vcc_lo
	v_add_co_u32 v0, vcc_lo, v0, v2
	v_add_co_ci_u32_e32 v1, vcc_lo, v1, v3, vcc_lo
	v_add_co_u32 v2, vcc_lo, v0, s6
	v_add_co_ci_u32_e32 v3, vcc_lo, s7, v1, vcc_lo
	global_load_dword v6, v[0:1], off
	v_add_co_u32 v0, vcc_lo, v2, s6
	v_add_co_ci_u32_e32 v1, vcc_lo, s7, v3, vcc_lo
	s_clause 0x6
	global_load_dword v65, v47, s[0:1]
	global_load_dword v64, v47, s[0:1] offset:340
	global_load_dword v62, v47, s[0:1] offset:680
	;; [unrolled: 1-line block ×6, first 2 shown]
	s_clause 0x1
	global_load_dword v7, v[2:3], off
	global_load_dword v13, v[0:1], off
	v_add_co_u32 v0, vcc_lo, v0, s6
	v_add_co_ci_u32_e32 v1, vcc_lo, s7, v1, vcc_lo
	v_add_co_u32 v2, vcc_lo, 0x800, v37
	v_add_co_ci_u32_e32 v3, vcc_lo, 0, v38, vcc_lo
	global_load_dword v17, v[0:1], off
	v_add_co_u32 v0, vcc_lo, v0, s6
	v_add_co_ci_u32_e32 v1, vcc_lo, s7, v1, vcc_lo
	global_load_dword v57, v[2:3], off offset:332
	v_add_co_u32 v4, vcc_lo, v0, s6
	v_add_co_ci_u32_e32 v5, vcc_lo, s7, v1, vcc_lo
	global_load_dword v18, v[0:1], off
	v_add_co_u32 v0, vcc_lo, v4, s6
	v_add_co_ci_u32_e32 v1, vcc_lo, s7, v5, vcc_lo
	global_load_dword v19, v[4:5], off
	;; [unrolled: 3-line block ×4, first 2 shown]
	v_add_co_u32 v4, vcc_lo, v0, s6
	v_add_co_ci_u32_e32 v5, vcc_lo, s7, v1, vcc_lo
	v_add_co_u32 v33, vcc_lo, 0x1000, v37
	v_add_co_ci_u32_e32 v34, vcc_lo, 0, v38, vcc_lo
	global_load_dword v56, v[2:3], off offset:672
	global_load_dword v22, v[0:1], off
	global_load_dword v23, v[4:5], off
	v_add_co_u32 v0, vcc_lo, v4, s6
	v_add_co_ci_u32_e32 v1, vcc_lo, s7, v5, vcc_lo
	s_clause 0x3
	global_load_dword v55, v[2:3], off offset:1012
	global_load_dword v54, v[2:3], off offset:1352
	;; [unrolled: 1-line block ×4, first 2 shown]
	global_load_dword v4, v[0:1], off
	v_add_co_u32 v0, vcc_lo, v0, s6
	v_add_co_ci_u32_e32 v1, vcc_lo, s7, v1, vcc_lo
	global_load_dword v51, v[33:34], off offset:324
	v_add_co_u32 v2, vcc_lo, v0, s6
	v_add_co_ci_u32_e32 v3, vcc_lo, s7, v1, vcc_lo
	global_load_dword v5, v[0:1], off
	v_add_co_u32 v0, vcc_lo, v2, s6
	v_add_co_ci_u32_e32 v1, vcc_lo, s7, v3, vcc_lo
	global_load_dword v24, v[2:3], off
	;; [unrolled: 3-line block ×4, first 2 shown]
	v_add_co_u32 v2, vcc_lo, v0, s6
	v_add_co_ci_u32_e32 v3, vcc_lo, s7, v1, vcc_lo
	global_load_dword v50, v[33:34], off offset:664
	global_load_dword v0, v[0:1], off
	global_load_dword v1, v[2:3], off
	s_clause 0x1
	global_load_dword v49, v[33:34], off offset:1004
	global_load_dword v48, v[33:34], off offset:1344
	v_add_nc_u32_e32 v2, 0x600, v47
	v_add_nc_u32_e32 v3, 0xc00, v47
	s_load_dwordx4 s[8:11], s[10:11], 0x0
	v_cmp_gt_u16_e32 vcc_lo, 34, v8
	s_waitcnt vmcnt(33)
	v_lshrrev_b32_e32 v27, 16, v6
	s_waitcnt vmcnt(32)
	v_mul_f16_sdwa v28, v65, v6 dst_sel:DWORD dst_unused:UNUSED_PAD src0_sel:WORD_1 src1_sel:DWORD
	s_waitcnt vmcnt(25)
	v_lshrrev_b32_e32 v30, 16, v7
	v_mul_f16_sdwa v29, v65, v27 dst_sel:DWORD dst_unused:UNUSED_PAD src0_sel:WORD_1 src1_sel:DWORD
	v_mul_f16_sdwa v31, v64, v7 dst_sel:DWORD dst_unused:UNUSED_PAD src0_sel:WORD_1 src1_sel:DWORD
	v_fma_f16 v27, v65, v27, -v28
	s_waitcnt vmcnt(24)
	v_lshrrev_b32_e32 v28, 16, v13
	v_fmac_f16_e32 v29, v65, v6
	v_mul_f16_sdwa v6, v64, v30 dst_sel:DWORD dst_unused:UNUSED_PAD src0_sel:WORD_1 src1_sel:DWORD
	v_fma_f16 v30, v64, v30, -v31
	v_mul_f16_sdwa v31, v62, v13 dst_sel:DWORD dst_unused:UNUSED_PAD src0_sel:WORD_1 src1_sel:DWORD
	s_waitcnt vmcnt(23)
	v_mul_f16_sdwa v35, v61, v17 dst_sel:DWORD dst_unused:UNUSED_PAD src0_sel:WORD_1 src1_sel:DWORD
	v_pack_b32_f16 v27, v29, v27
	v_fmac_f16_e32 v6, v64, v7
	v_mul_f16_sdwa v7, v62, v28 dst_sel:DWORD dst_unused:UNUSED_PAD src0_sel:WORD_1 src1_sel:DWORD
	v_lshrrev_b32_e32 v29, 16, v17
	v_fma_f16 v28, v62, v28, -v31
	v_pack_b32_f16 v6, v6, v30
	v_fmac_f16_e32 v7, v62, v13
	v_mul_f16_sdwa v13, v61, v29 dst_sel:DWORD dst_unused:UNUSED_PAD src0_sel:WORD_1 src1_sel:DWORD
	s_waitcnt vmcnt(21)
	v_lshrrev_b32_e32 v30, 16, v18
	v_fma_f16 v29, v61, v29, -v35
	v_mul_f16_sdwa v31, v60, v18 dst_sel:DWORD dst_unused:UNUSED_PAD src0_sel:WORD_1 src1_sel:DWORD
	ds_write2_b32 v47, v27, v6 offset1:85
	v_pack_b32_f16 v6, v7, v28
	v_fmac_f16_e32 v13, v61, v17
	v_mul_f16_sdwa v7, v60, v30 dst_sel:DWORD dst_unused:UNUSED_PAD src0_sel:WORD_1 src1_sel:DWORD
	s_waitcnt vmcnt(20)
	v_lshrrev_b32_e32 v17, 16, v19
	v_mul_f16_sdwa v27, v59, v19 dst_sel:DWORD dst_unused:UNUSED_PAD src0_sel:WORD_1 src1_sel:DWORD
	v_fma_f16 v28, v60, v30, -v31
	v_pack_b32_f16 v13, v13, v29
	v_fmac_f16_e32 v7, v60, v18
	v_mul_f16_sdwa v18, v59, v17 dst_sel:DWORD dst_unused:UNUSED_PAD src0_sel:WORD_1 src1_sel:DWORD
	v_fma_f16 v17, v59, v17, -v27
	s_waitcnt vmcnt(19)
	v_lshrrev_b32_e32 v27, 16, v20
	v_mul_f16_sdwa v29, v58, v20 dst_sel:DWORD dst_unused:UNUSED_PAD src0_sel:WORD_1 src1_sel:DWORD
	ds_write2_b32 v47, v6, v13 offset0:170 offset1:255
	v_pack_b32_f16 v6, v7, v28
	v_fmac_f16_e32 v18, v59, v19
	v_mul_f16_sdwa v7, v58, v27 dst_sel:DWORD dst_unused:UNUSED_PAD src0_sel:WORD_1 src1_sel:DWORD
	s_waitcnt vmcnt(18)
	v_lshrrev_b32_e32 v13, 16, v21
	v_mul_f16_sdwa v19, v57, v21 dst_sel:DWORD dst_unused:UNUSED_PAD src0_sel:WORD_1 src1_sel:DWORD
	v_fma_f16 v27, v58, v27, -v29
	v_pack_b32_f16 v17, v18, v17
	v_fmac_f16_e32 v7, v58, v20
	v_mul_f16_sdwa v18, v57, v13 dst_sel:DWORD dst_unused:UNUSED_PAD src0_sel:WORD_1 src1_sel:DWORD
	v_fma_f16 v13, v57, v13, -v19
	s_waitcnt vmcnt(16)
	v_lshrrev_b32_e32 v19, 16, v22
	v_mul_f16_sdwa v20, v56, v22 dst_sel:DWORD dst_unused:UNUSED_PAD src0_sel:WORD_1 src1_sel:DWORD
	ds_write2_b32 v9, v6, v17 offset0:84 offset1:169
	v_pack_b32_f16 v6, v7, v27
	v_fmac_f16_e32 v18, v57, v21
	v_mul_f16_sdwa v7, v56, v19 dst_sel:DWORD dst_unused:UNUSED_PAD src0_sel:WORD_1 src1_sel:DWORD
	s_waitcnt vmcnt(15)
	v_lshrrev_b32_e32 v17, 16, v23
	s_waitcnt vmcnt(14)
	v_mul_f16_sdwa v21, v55, v23 dst_sel:DWORD dst_unused:UNUSED_PAD src0_sel:WORD_1 src1_sel:DWORD
	v_fma_f16 v19, v56, v19, -v20
	v_pack_b32_f16 v13, v18, v13
	v_fmac_f16_e32 v7, v56, v22
	v_mul_f16_sdwa v18, v55, v17 dst_sel:DWORD dst_unused:UNUSED_PAD src0_sel:WORD_1 src1_sel:DWORD
	s_waitcnt vmcnt(10)
	v_lshrrev_b32_e32 v20, 16, v4
	v_fma_f16 v17, v55, v17, -v21
	v_mul_f16_sdwa v21, v54, v4 dst_sel:DWORD dst_unused:UNUSED_PAD src0_sel:WORD_1 src1_sel:DWORD
	ds_write2_b32 v2, v6, v13 offset0:126 offset1:211
	v_pack_b32_f16 v6, v7, v19
	v_fmac_f16_e32 v18, v55, v23
	v_mul_f16_sdwa v7, v54, v20 dst_sel:DWORD dst_unused:UNUSED_PAD src0_sel:WORD_1 src1_sel:DWORD
	s_waitcnt vmcnt(8)
	v_lshrrev_b32_e32 v13, 16, v5
	v_mul_f16_sdwa v19, v53, v5 dst_sel:DWORD dst_unused:UNUSED_PAD src0_sel:WORD_1 src1_sel:DWORD
	v_fma_f16 v20, v54, v20, -v21
	v_pack_b32_f16 v17, v18, v17
	v_fmac_f16_e32 v7, v54, v4
	v_mul_f16_sdwa v4, v53, v13 dst_sel:DWORD dst_unused:UNUSED_PAD src0_sel:WORD_1 src1_sel:DWORD
	v_fma_f16 v13, v53, v13, -v19
	s_waitcnt vmcnt(7)
	v_lshrrev_b32_e32 v18, 16, v24
	v_mul_f16_sdwa v19, v52, v24 dst_sel:DWORD dst_unused:UNUSED_PAD src0_sel:WORD_1 src1_sel:DWORD
	v_pack_b32_f16 v7, v7, v20
	v_fmac_f16_e32 v4, v53, v5
	s_waitcnt vmcnt(6)
	v_lshrrev_b32_e32 v5, 16, v25
	v_mul_f16_sdwa v20, v52, v18 dst_sel:DWORD dst_unused:UNUSED_PAD src0_sel:WORD_1 src1_sel:DWORD
	v_fma_f16 v18, v52, v18, -v19
	v_mul_f16_sdwa v19, v51, v25 dst_sel:DWORD dst_unused:UNUSED_PAD src0_sel:WORD_1 src1_sel:DWORD
	v_pack_b32_f16 v4, v4, v13
	v_mul_f16_sdwa v13, v51, v5 dst_sel:DWORD dst_unused:UNUSED_PAD src0_sel:WORD_1 src1_sel:DWORD
	s_waitcnt vmcnt(5)
	v_lshrrev_b32_e32 v21, 16, v26
	s_waitcnt vmcnt(3)
	v_lshrrev_b32_e32 v22, 16, v0
	v_fma_f16 v5, v51, v5, -v19
	v_mul_f16_sdwa v19, v50, v26 dst_sel:DWORD dst_unused:UNUSED_PAD src0_sel:WORD_1 src1_sel:DWORD
	v_fmac_f16_e32 v20, v52, v24
	s_waitcnt vmcnt(2)
	v_lshrrev_b32_e32 v24, 16, v1
	v_fmac_f16_e32 v13, v51, v25
	v_mul_f16_sdwa v23, v50, v21 dst_sel:DWORD dst_unused:UNUSED_PAD src0_sel:WORD_1 src1_sel:DWORD
	v_fma_f16 v19, v50, v21, -v19
	s_waitcnt vmcnt(1)
	v_mul_f16_sdwa v21, v49, v0 dst_sel:DWORD dst_unused:UNUSED_PAD src0_sel:WORD_1 src1_sel:DWORD
	v_mul_f16_sdwa v25, v49, v22 dst_sel:DWORD dst_unused:UNUSED_PAD src0_sel:WORD_1 src1_sel:DWORD
	s_waitcnt vmcnt(0)
	v_mul_f16_sdwa v27, v48, v1 dst_sel:DWORD dst_unused:UNUSED_PAD src0_sel:WORD_1 src1_sel:DWORD
	v_mul_f16_sdwa v28, v48, v24 dst_sel:DWORD dst_unused:UNUSED_PAD src0_sel:WORD_1 src1_sel:DWORD
	v_fmac_f16_e32 v23, v50, v26
	v_fma_f16 v21, v49, v22, -v21
	v_fmac_f16_e32 v25, v49, v0
	v_fma_f16 v0, v48, v24, -v27
	v_fmac_f16_e32 v28, v48, v1
	v_pack_b32_f16 v1, v20, v18
	v_pack_b32_f16 v5, v13, v5
	;; [unrolled: 1-line block ×5, first 2 shown]
	ds_write2_b32 v11, v6, v17 offset0:168 offset1:253
	ds_write2_b32 v3, v7, v4 offset0:82 offset1:167
	;; [unrolled: 1-line block ×4, first 2 shown]
	ds_write_b32 v47, v0 offset:5440
	s_waitcnt lgkmcnt(0)
	s_barrier
	buffer_gl0_inv
	ds_read2_b32 v[0:1], v47 offset1:85
	ds_read_b32 v17, v47 offset:5440
	ds_read2_b32 v[35:36], v2 offset0:126 offset1:211
	ds_read2_b32 v[4:5], v3 offset0:82 offset1:167
	;; [unrolled: 1-line block ×6, first 2 shown]
	v_mov_b32_e32 v13, 0xbbb2
	v_mov_b32_e32 v18, 0xba62
	;; [unrolled: 1-line block ×3, first 2 shown]
	ds_read2_b32 v[2:3], v11 offset0:168 offset1:253
	v_mov_b32_e32 v28, 0xb1e1
	v_mov_b32_e32 v20, 0x3b29
	;; [unrolled: 1-line block ×5, first 2 shown]
	s_waitcnt lgkmcnt(0)
	s_barrier
	buffer_gl0_inv
	v_pk_add_f16 v74, v0, v1
	v_pk_add_f16 v72, v1, v17 neg_lo:[0,1] neg_hi:[0,1]
	v_pk_add_f16 v73, v17, v1
	v_pk_add_f16 v27, v7, v45
	;; [unrolled: 1-line block ×3, first 2 shown]
	v_pk_add_f16 v40, v43, v67 neg_lo:[0,1] neg_hi:[0,1]
	v_mul_f16_sdwa v75, v72, v14 dst_sel:DWORD dst_unused:UNUSED_PAD src0_sel:WORD_1 src1_sel:DWORD
	v_lshrrev_b32_e32 v76, 16, v73
	v_mul_f16_e32 v77, 0xb964, v72
	v_mul_f16_sdwa v78, v72, v16 dst_sel:DWORD dst_unused:UNUSED_PAD src0_sel:WORD_1 src1_sel:DWORD
	v_mul_f16_e32 v79, 0xbb29, v72
	v_mul_f16_sdwa v80, v72, v15 dst_sel:DWORD dst_unused:UNUSED_PAD src0_sel:WORD_1 src1_sel:DWORD
	;; [unrolled: 2-line block ×3, first 2 shown]
	v_mul_f16_e32 v83, 0xbbb2, v72
	v_mul_f16_e32 v84, 0xba62, v72
	;; [unrolled: 1-line block ×3, first 2 shown]
	v_mul_f16_sdwa v86, v72, v18 dst_sel:DWORD dst_unused:UNUSED_PAD src0_sel:WORD_1 src1_sel:DWORD
	v_mul_f16_sdwa v87, v72, v19 dst_sel:DWORD dst_unused:UNUSED_PAD src0_sel:WORD_1 src1_sel:DWORD
	v_pk_mul_f16 v88, 0x3b7639e9, v73
	v_pk_mul_f16 v89, 0xbbdd, v73 op_sel_hi:[0,1]
	v_pk_add_f16 v43, v74, v43
	v_fma_f16 v129, v73, 0x3b76, -v75
	v_fmac_f16_e32 v75, 0x3b76, v73
	v_fmamk_f16 v130, v76, 0x39e9, v77
	v_fma_f16 v77, v76, 0x39e9, -v77
	v_fma_f16 v131, v73, 0x3722, -v78
	v_fmamk_f16 v132, v76, 0x3722, v79
	v_fmac_f16_e32 v78, 0x3722, v73
	v_fma_f16 v79, v76, 0x3722, -v79
	v_fmamk_f16 v133, v76, 0x2de8, v81
	v_fma_f16 v81, v76, 0x2de8, -v81
	v_fmamk_f16 v134, v76, 0xb461, v83
	;; [unrolled: 2-line block ×4, first 2 shown]
	v_fma_f16 v76, v76, 0xbacd, -v85
	v_fma_f16 v85, v73, 0x2de8, -v80
	v_fmac_f16_e32 v80, 0x2de8, v73
	v_fma_f16 v137, v73, 0xb461, -v82
	v_fmac_f16_e32 v82, 0xb461, v73
	;; [unrolled: 2-line block ×4, first 2 shown]
	v_pk_fma_f16 v73, 0xb964b5c8, v72, v88 op_sel:[0,0,1] op_sel_hi:[1,1,0] neg_lo:[0,1,0] neg_hi:[0,1,0]
	v_pk_fma_f16 v88, 0xb964b5c8, v72, v88 op_sel:[0,0,1] op_sel_hi:[1,1,0]
	v_pk_fma_f16 v140, 0xb1e1, v72, v89 op_sel:[0,0,1] op_sel_hi:[0,1,0] neg_lo:[0,1,0] neg_hi:[0,1,0]
	v_pk_fma_f16 v72, 0xb1e1, v72, v89 op_sel:[0,0,1] op_sel_hi:[0,1,0]
	v_pk_add_f16 v89, v43, v44
	v_pk_add_f16 v26, v45, v7 neg_lo:[0,1] neg_hi:[0,1]
	v_pk_add_f16 v23, v5, v35
	v_pk_add_f16 v21, v35, v5 neg_lo:[0,1] neg_hi:[0,1]
	v_pk_add_f16 v22, v4, v36
	v_pk_add_f16 v45, v89, v45
	v_pk_add_f16 v1, v36, v4 neg_lo:[0,1] neg_hi:[0,1]
	v_pk_add_f16 v41, v66, v44
	v_pk_mul_f16 v115, 0x39e92de8, v42
	v_pk_add_f16 v39, v44, v66 neg_lo:[0,1] neg_hi:[0,1]
	v_pk_add_f16 v45, v45, v46
	v_lshrrev_b32_e32 v74, 16, v42
	v_mul_f16_e32 v91, 0xba62, v40
	v_mul_f16_e32 v92, 0xb1e1, v40
	v_mul_f16_sdwa v111, v40, v18 dst_sel:DWORD dst_unused:UNUSED_PAD src0_sel:WORD_1 src1_sel:DWORD
	v_pk_add_f16 v35, v45, v35
	v_mul_f16_sdwa v112, v40, v28 dst_sel:DWORD dst_unused:UNUSED_PAD src0_sel:WORD_1 src1_sel:DWORD
	v_pk_mul_f16 v121, 0x3722b8d2, v41
	v_pk_fma_f16 v162, 0xbbf7b964, v40, v115 op_sel:[0,0,1] op_sel_hi:[1,1,0] neg_lo:[0,1,0] neg_hi:[0,1,0]
	v_pk_fma_f16 v115, 0xbbf7b964, v40, v115 op_sel:[0,0,1] op_sel_hi:[1,1,0]
	v_pk_add_f16 v35, v35, v36
	v_bfi_b32 v179, 0xffff, v88, v73
	v_mul_f16_e32 v93, 0x3836, v40
	v_mul_f16_e32 v94, 0x3bb2, v40
	v_lshrrev_b32_e32 v96, 16, v41
	v_pk_add_f16 v35, v35, v2
	v_mul_f16_e32 v98, 0x31e1, v39
	v_mul_f16_e32 v99, 0x3bb2, v39
	v_mul_f16_sdwa v68, v40, v68 dst_sel:DWORD dst_unused:UNUSED_PAD src0_sel:WORD_1 src1_sel:DWORD
	v_mul_f16_sdwa v113, v40, v69 dst_sel:DWORD dst_unused:UNUSED_PAD src0_sel:WORD_1 src1_sel:DWORD
	v_pk_add_f16 v35, v35, v3
	v_mul_f16_sdwa v114, v40, v20 dst_sel:DWORD dst_unused:UNUSED_PAD src0_sel:WORD_1 src1_sel:DWORD
	v_mul_f16_sdwa v70, v39, v70 dst_sel:DWORD dst_unused:UNUSED_PAD src0_sel:WORD_1 src1_sel:DWORD
	;; [unrolled: 1-line block ×3, first 2 shown]
	v_pk_mul_f16 v126, 0x2de8bbdd, v27
	v_pk_add_f16 v4, v35, v4
	v_fmamk_f16 v142, v74, 0xb8d2, v91
	v_fma_f16 v91, v74, 0xb8d2, -v91
	v_fmamk_f16 v143, v74, 0xbbdd, v92
	v_fma_f16 v157, v42, 0xb8d2, -v111
	v_pk_add_f16 v4, v4, v5
	v_fmac_f16_e32 v111, 0xb8d2, v42
	v_fma_f16 v158, v42, 0xbbdd, -v112
	v_pk_fma_f16 v169, 0xba62bb29, v39, v121 op_sel:[0,0,1] op_sel_hi:[1,1,0] neg_lo:[0,1,0] neg_hi:[0,1,0]
	v_pk_fma_f16 v121, 0xba62bb29, v39, v121 op_sel:[0,0,1] op_sel_hi:[1,1,0]
	v_add_f16_e32 v129, v0, v129
	v_add_f16_e32 v75, v0, v75
	v_add_f16_sdwa v130, v0, v130 dst_sel:DWORD dst_unused:UNUSED_PAD src0_sel:WORD_1 src1_sel:DWORD
	v_add_f16_sdwa v77, v0, v77 dst_sel:DWORD dst_unused:UNUSED_PAD src0_sel:WORD_1 src1_sel:DWORD
	v_add_f16_e32 v131, v0, v131
	v_add_f16_sdwa v132, v0, v132 dst_sel:DWORD dst_unused:UNUSED_PAD src0_sel:WORD_1 src1_sel:DWORD
	v_add_f16_e32 v78, v0, v78
	;; [unrolled: 2-line block ×10, first 2 shown]
	v_add_f16_sdwa v76, v0, v76 dst_sel:DWORD dst_unused:UNUSED_PAD src0_sel:WORD_1 src1_sel:DWORD
	v_add_f16_sdwa v73, v0, v73 dst_sel:DWORD dst_unused:UNUSED_PAD src0_sel:WORD_1 src1_sel:DWORD
	v_add_f16_sdwa v88, v0, v88 dst_sel:DWORD dst_unused:UNUSED_PAD src0_sel:DWORD src1_sel:WORD_1
	v_pk_add_f16 v44, v0, v140 op_sel:[1,0] op_sel_hi:[0,1]
	v_pk_add_f16 v43, v0, v72 op_sel:[1,0] op_sel_hi:[0,1]
	v_bfi_b32 v72, 0xffff, v115, v162
	v_pk_add_f16 v0, v0, v179 op_sel:[1,0] op_sel_hi:[0,1]
	v_pk_add_f16 v4, v4, v6
	v_pk_add_f16 v25, v6, v46
	v_mul_f16_e32 v90, 0xbbf7, v40
	v_mul_f16_e32 v95, 0x3b29, v40
	;; [unrolled: 1-line block ×6, first 2 shown]
	v_lshrrev_b32_e32 v103, 16, v27
	v_mul_f16_e32 v104, 0xb1e1, v26
	v_mul_f16_e32 v105, 0x3bb2, v26
	;; [unrolled: 1-line block ×6, first 2 shown]
	v_mul_f16_sdwa v110, v40, v30 dst_sel:DWORD dst_unused:UNUSED_PAD src0_sel:WORD_1 src1_sel:DWORD
	v_mul_f16_sdwa v119, v39, v14 dst_sel:DWORD dst_unused:UNUSED_PAD src0_sel:WORD_1 src1_sel:DWORD
	;; [unrolled: 1-line block ×3, first 2 shown]
	v_fma_f16 v92, v74, 0xbbdd, -v92
	v_fmamk_f16 v144, v74, 0xbacd, v93
	v_fma_f16 v93, v74, 0xbacd, -v93
	v_fmamk_f16 v145, v74, 0xb461, v94
	v_fma_f16 v94, v74, 0xb461, -v94
	v_fmamk_f16 v147, v96, 0xbbdd, v98
	v_fma_f16 v98, v96, 0xbbdd, -v98
	v_fmamk_f16 v148, v96, 0xb461, v99
	v_fmac_f16_e32 v112, 0xbbdd, v42
	v_fma_f16 v159, v42, 0xbacd, -v68
	v_fmac_f16_e32 v68, 0xbacd, v42
	v_fma_f16 v160, v42, 0xb461, -v113
	v_fmac_f16_e32 v113, 0xb461, v42
	v_fma_f16 v161, v42, 0x3722, -v114
	v_fmac_f16_e32 v114, 0x3722, v42
	v_fma_f16 v164, v41, 0xbbdd, -v70
	v_fmac_f16_e32 v70, 0xbbdd, v41
	v_fma_f16 v165, v41, 0xb461, -v117
	v_pk_fma_f16 v176, 0xb1e1bbf7, v26, v126 op_sel:[0,0,1] op_sel_hi:[1,1,0] neg_lo:[0,1,0] neg_hi:[0,1,0]
	v_pk_fma_f16 v126, 0xb1e1bbf7, v26, v126 op_sel:[0,0,1] op_sel_hi:[1,1,0]
	v_bfi_b32 v89, 0xffff, v121, v169
	v_add_f16_e32 v78, v111, v78
	v_add_f16_e32 v79, v91, v79
	;; [unrolled: 1-line block ×4, first 2 shown]
	v_pk_add_f16 v0, v72, v0
	v_pk_add_f16 v4, v4, v7
	v_pk_add_f16 v24, v46, v6 neg_lo:[0,1] neg_hi:[0,1]
	v_mul_f16_sdwa v116, v39, v16 dst_sel:DWORD dst_unused:UNUSED_PAD src0_sel:WORD_1 src1_sel:DWORD
	v_mul_f16_sdwa v118, v39, v29 dst_sel:DWORD dst_unused:UNUSED_PAD src0_sel:WORD_1 src1_sel:DWORD
	;; [unrolled: 1-line block ×6, first 2 shown]
	v_pk_mul_f16 v128, 0xb461bacd, v25
	v_fmamk_f16 v141, v74, 0x2de8, v90
	v_fma_f16 v90, v74, 0x2de8, -v90
	v_fmamk_f16 v146, v74, 0x3722, v95
	v_fma_f16 v74, v74, 0x3722, -v95
	;; [unrolled: 2-line block ×3, first 2 shown]
	v_fma_f16 v99, v96, 0xb461, -v99
	v_fmamk_f16 v149, v96, 0x39e9, v100
	v_fma_f16 v100, v96, 0x39e9, -v100
	v_fmamk_f16 v150, v96, 0x3b76, v101
	;; [unrolled: 2-line block ×9, first 2 shown]
	v_fma_f16 v103, v103, 0xb8d2, -v109
	v_fma_f16 v109, v42, 0x39e9, -v110
	v_fmac_f16_e32 v110, 0x39e9, v42
	v_fmac_f16_e32 v117, 0xb461, v41
	v_fma_f16 v167, v41, 0x3b76, -v119
	v_fmac_f16_e32 v119, 0x3b76, v41
	v_fma_f16 v168, v41, 0x2de8, -v120
	v_fmac_f16_e32 v120, 0x2de8, v41
	v_bfi_b32 v140, 0xffff, v126, v176
	v_add_f16_e32 v80, v112, v80
	v_add_f16_e32 v81, v92, v81
	;; [unrolled: 1-line block ×13, first 2 shown]
	v_pk_add_f16 v0, v89, v0
	v_pk_add_f16 v4, v4, v66
	v_mul_f16_sdwa v123, v26, v16 dst_sel:DWORD dst_unused:UNUSED_PAD src0_sel:WORD_1 src1_sel:DWORD
	v_fma_f16 v163, v41, 0x3722, -v116
	v_fmac_f16_e32 v116, 0x3722, v41
	v_fma_f16 v166, v41, 0x39e9, -v118
	v_fma_f16 v171, v27, 0xb461, -v69
	v_fmac_f16_e32 v69, 0xb461, v27
	v_fma_f16 v172, v27, 0x3b76, -v71
	v_fmac_f16_e32 v71, 0x3b76, v27
	v_fma_f16 v174, v27, 0xbacd, -v124
	v_fma_f16 v175, v27, 0xb8d2, -v125
	v_fmac_f16_e32 v125, 0xb8d2, v27
	v_pk_fma_f16 v178, 0x3836bbb2, v24, v128 op_sel:[0,0,1] op_sel_hi:[1,1,0] neg_lo:[0,1,0] neg_hi:[0,1,0]
	v_add_f16_e32 v46, v109, v129
	v_add_f16_e32 v75, v110, v75
	;; [unrolled: 1-line block ×15, first 2 shown]
	v_pk_add_f16 v85, v140, v0
	v_pk_add_f16 v0, v4, v67
	v_pk_fma_f16 v4, 0x3836bbb2, v24, v128 op_sel:[0,0,1] op_sel_hi:[1,1,0]
	v_fma_f16 v173, v27, 0x3722, -v123
	v_add_f16_e32 v109, v141, v130
	v_add_f16_e32 v74, v74, v76
	;; [unrolled: 1-line block ×17, first 2 shown]
	v_lshrrev_b32_e32 v67, 16, v25
	v_mul_f16_e32 v86, 0x3836, v24
	v_mul_f16_sdwa v87, v24, v29 dst_sel:DWORD dst_unused:UNUSED_PAD src0_sel:WORD_1 src1_sel:DWORD
	v_bfi_b32 v89, 0xffff, v4, v178
	v_add_f16_e32 v111, v144, v134
	v_add_f16_e32 v72, v95, v109
	;; [unrolled: 1-line block ×7, first 2 shown]
	v_fmamk_f16 v90, v67, 0xbacd, v86
	v_pk_add_f16 v0, v0, v17
	v_fma_f16 v17, v67, 0xbacd, -v86
	v_fma_f16 v86, v25, 0x39e9, -v87
	v_pk_add_f16 v85, v89, v85
	v_mul_f16_e32 v89, 0x3964, v24
	v_fmac_f16_e32 v118, 0x39e9, v41
	v_add_f16_e32 v91, v149, v111
	v_add_f16_e32 v72, v102, v72
	;; [unrolled: 1-line block ×4, first 2 shown]
	v_mul_f16_sdwa v16, v24, v16 dst_sel:DWORD dst_unused:UNUSED_PAD src0_sel:WORD_1 src1_sel:DWORD
	v_mul_f16_e32 v76, 0xbb29, v24
	v_fmamk_f16 v86, v67, 0x39e9, v89
	v_fmac_f16_e32 v87, 0x39e9, v25
	v_fma_f16 v89, v67, 0x39e9, -v89
	v_fmac_f16_e32 v123, 0x3722, v27
	v_add_f16_e32 v68, v118, v68
	v_add_f16_e32 v6, v154, v91
	;; [unrolled: 1-line block ×3, first 2 shown]
	v_fma_f16 v90, v25, 0x3722, -v16
	v_fmamk_f16 v91, v67, 0x3722, v76
	v_add_f16_e32 v35, v86, v35
	v_add_f16_e32 v69, v87, v69
	;; [unrolled: 1-line block ×3, first 2 shown]
	v_mul_f16_sdwa v86, v24, v28 dst_sel:DWORD dst_unused:UNUSED_PAD src0_sel:WORD_1 src1_sel:DWORD
	v_fmac_f16_e32 v16, 0x3722, v25
	v_fma_f16 v76, v67, 0x3722, -v76
	v_mov_b32_e32 v87, 0x3bf7
	v_mul_f16_e32 v89, 0xb1e1, v24
	v_add_f16_e32 v68, v123, v68
	v_add_f16_e32 v77, v90, v77
	v_fma_f16 v90, v25, 0xbbdd, -v86
	v_add_f16_e32 v16, v16, v71
	v_add_f16_e32 v71, v76, v78
	v_mul_f16_sdwa v76, v24, v87 dst_sel:DWORD dst_unused:UNUSED_PAD src0_sel:WORD_1 src1_sel:DWORD
	v_fmamk_f16 v78, v67, 0xbbdd, v89
	v_fmac_f16_e32 v86, 0xbbdd, v25
	v_mul_f16_sdwa v122, v26, v15 dst_sel:DWORD dst_unused:UNUSED_PAD src0_sel:WORD_1 src1_sel:DWORD
	v_fmac_f16_e32 v124, 0xbacd, v27
	v_add_f16_e32 v79, v90, v79
	v_fma_f16 v89, v67, 0xbbdd, -v89
	v_fma_f16 v90, v25, 0x2de8, -v76
	v_add_f16_e32 v6, v78, v6
	v_mul_f16_e32 v78, 0x3bf7, v24
	v_add_f16_e32 v68, v86, v68
	v_mul_f16_sdwa v86, v24, v14 dst_sel:DWORD dst_unused:UNUSED_PAD src0_sel:WORD_1 src1_sel:DWORD
	v_mul_f16_sdwa v127, v24, v13 dst_sel:DWORD dst_unused:UNUSED_PAD src0_sel:WORD_1 src1_sel:DWORD
	v_fma_f16 v170, v27, 0x2de8, -v122
	v_add_f16_e32 v93, v145, v135
	v_add_f16_e32 v112, v146, v136
	;; [unrolled: 1-line block ×7, first 2 shown]
	v_fmamk_f16 v89, v67, 0x2de8, v78
	v_fmac_f16_e32 v76, 0x2de8, v25
	v_fma_f16 v78, v67, 0x2de8, -v78
	v_mul_f16_e32 v90, 0xb5c8, v24
	v_fma_f16 v91, v25, 0x3b76, -v86
	v_fma_f16 v177, v25, 0xb461, -v127
	v_add_f16_e32 v92, v150, v93
	v_add_f16_e32 v93, v151, v112
	;; [unrolled: 1-line block ×6, first 2 shown]
	v_fmamk_f16 v78, v67, 0x3b76, v90
	v_add_f16_e32 v82, v91, v83
	v_fma_f16 v67, v67, 0x3b76, -v90
	v_mul_f16_sdwa v83, v21, v18 dst_sel:DWORD dst_unused:UNUSED_PAD src0_sel:WORD_1 src1_sel:DWORD
	v_fmac_f16_e32 v122, 0x2de8, v27
	v_add_f16_e32 v66, v156, v93
	v_add_f16_e32 v45, v177, v45
	;; [unrolled: 1-line block ×3, first 2 shown]
	v_fma_f16 v74, v23, 0xb8d2, -v83
	v_fmac_f16_e32 v127, 0xb461, v25
	v_add_f16_e32 v46, v122, v46
	v_add_f16_e32 v7, v155, v92
	v_fmac_f16_e32 v86, 0x3b76, v25
	v_add_f16_e32 v66, v78, v66
	v_pk_mul_f16 v78, 0xb8d2b461, v23
	v_add_f16_e32 v45, v74, v45
	v_mul_f16_sdwa v74, v21, v14 dst_sel:DWORD dst_unused:UNUSED_PAD src0_sel:WORD_1 src1_sel:DWORD
	v_add_f16_e32 v46, v127, v46
	v_add_f16_e32 v7, v89, v7
	v_add_f16_e32 v84, v86, v84
	v_fmac_f16_e32 v83, 0xb8d2, v23
	v_pk_fma_f16 v86, 0x3bb2ba62, v21, v78 op_sel:[0,0,1] op_sel_hi:[1,1,0] neg_lo:[0,1,0] neg_hi:[0,1,0]
	v_pk_fma_f16 v78, 0x3bb2ba62, v21, v78 op_sel:[0,0,1] op_sel_hi:[1,1,0]
	v_lshrrev_b32_e32 v89, 16, v23
	v_mul_f16_e32 v90, 0x3bb2, v21
	v_fma_f16 v92, v23, 0x3b76, -v74
	v_add_f16_e32 v46, v83, v46
	v_bfi_b32 v91, 0xffff, v78, v86
	v_fmac_f16_e32 v74, 0x3b76, v23
	v_fmamk_f16 v83, v89, 0xb461, v90
	v_add_f16_e32 v75, v92, v75
	v_mul_f16_e32 v92, 0xb836, v21
	v_fma_f16 v90, v89, 0xb461, -v90
	v_pk_add_f16 v85, v91, v85
	v_mul_f16_e32 v91, 0xb5c8, v21
	v_add_f16_e32 v72, v83, v72
	v_mul_f16_sdwa v83, v21, v19 dst_sel:DWORD dst_unused:UNUSED_PAD src0_sel:WORD_1 src1_sel:DWORD
	v_add_f16_e32 v69, v74, v69
	v_fmamk_f16 v74, v89, 0xbacd, v92
	v_add_f16_e32 v17, v90, v17
	v_fmamk_f16 v90, v89, 0x3b76, v91
	v_fma_f16 v93, v23, 0xbacd, -v83
	v_fmac_f16_e32 v83, 0xbacd, v23
	v_add_f16_e32 v5, v74, v5
	v_mul_f16_e32 v74, 0x3bf7, v21
	v_fma_f16 v91, v89, 0x3b76, -v91
	v_add_f16_e32 v35, v90, v35
	v_mul_f16_sdwa v87, v21, v87 dst_sel:DWORD dst_unused:UNUSED_PAD src0_sel:WORD_1 src1_sel:DWORD
	v_fma_f16 v90, v89, 0xbacd, -v92
	v_add_f16_e32 v16, v83, v16
	v_mul_f16_sdwa v30, v21, v30 dst_sel:DWORD dst_unused:UNUSED_PAD src0_sel:WORD_1 src1_sel:DWORD
	v_fmamk_f16 v83, v89, 0x2de8, v74
	v_add_f16_e32 v70, v91, v70
	v_fma_f16 v91, v23, 0x2de8, -v87
	v_add_f16_e32 v71, v90, v71
	v_fmac_f16_e32 v87, 0x2de8, v23
	v_fma_f16 v74, v89, 0x2de8, -v74
	v_fma_f16 v90, v23, 0x39e9, -v30
	v_add_f16_e32 v6, v83, v6
	v_mul_f16_e32 v83, 0xb964, v21
	v_add_f16_e32 v68, v87, v68
	v_add_f16_e32 v74, v74, v80
	;; [unrolled: 1-line block ×3, first 2 shown]
	v_fmac_f16_e32 v30, 0x39e9, v23
	v_fmamk_f16 v87, v89, 0x39e9, v83
	v_fma_f16 v83, v89, 0x39e9, -v83
	v_mul_f16_e32 v90, 0xb1e1, v21
	v_mul_f16_sdwa v81, v21, v28 dst_sel:DWORD dst_unused:UNUSED_PAD src0_sel:WORD_1 src1_sel:DWORD
	v_add_f16_e32 v30, v30, v36
	v_add_f16_e32 v79, v91, v79
	;; [unrolled: 1-line block ×3, first 2 shown]
	v_fmamk_f16 v76, v89, 0xbbdd, v90
	v_fma_f16 v91, v23, 0xbbdd, -v81
	v_add_f16_e32 v7, v87, v7
	v_fmac_f16_e32 v81, 0xbbdd, v23
	v_fma_f16 v83, v89, 0xbbdd, -v90
	v_mul_f16_sdwa v87, v1, v19 dst_sel:DWORD dst_unused:UNUSED_PAD src0_sel:WORD_1 src1_sel:DWORD
	v_add_f16_e32 v66, v76, v66
	v_pk_mul_f16 v76, 0xbacd3722, v22
	v_add_f16_e32 v81, v81, v84
	v_add_f16_e32 v67, v83, v67
	v_fma_f16 v83, v22, 0xbacd, -v87
	v_add_f16_e32 v82, v91, v82
	v_pk_fma_f16 v84, 0x3b29b836, v1, v76 op_sel:[0,0,1] op_sel_hi:[1,1,0] neg_lo:[0,1,0] neg_hi:[0,1,0]
	v_pk_fma_f16 v76, 0x3b29b836, v1, v76 op_sel:[0,0,1] op_sel_hi:[1,1,0]
	v_fmac_f16_e32 v87, 0xbacd, v22
	v_lshrrev_b32_e32 v89, 16, v22
	v_mul_f16_e32 v90, 0x3b29, v1
	v_add_f16_e32 v45, v83, v45
	v_bfi_b32 v83, 0xffff, v76, v84
	v_mul_f16_e32 v91, 0xbbf7, v1
	v_add_f16_e32 v46, v87, v46
	v_mul_f16_sdwa v15, v1, v15 dst_sel:DWORD dst_unused:UNUSED_PAD src0_sel:WORD_1 src1_sel:DWORD
	v_fmamk_f16 v87, v89, 0x3722, v90
	v_pk_add_f16 v83, v83, v85
	v_fmamk_f16 v85, v89, 0x2de8, v91
	v_fma_f16 v90, v89, 0x3722, -v90
	v_fma_f16 v92, v22, 0x2de8, -v15
	v_add_f16_e32 v72, v87, v72
	v_fmac_f16_e32 v15, 0x2de8, v22
	v_fma_f16 v87, v89, 0x2de8, -v91
	v_add_f16_e32 v85, v85, v35
	v_mul_f16_e32 v35, 0x3a62, v1
	v_mul_f16_sdwa v31, v1, v31 dst_sel:DWORD dst_unused:UNUSED_PAD src0_sel:WORD_1 src1_sel:DWORD
	v_add_f16_e32 v15, v15, v69
	v_add_f16_e32 v69, v87, v70
	v_mul_f16_sdwa v14, v1, v14 dst_sel:DWORD dst_unused:UNUSED_PAD src0_sel:WORD_1 src1_sel:DWORD
	v_fmamk_f16 v70, v89, 0xb8d2, v35
	v_add_f16_e32 v17, v90, v17
	v_fma_f16 v90, v22, 0xb8d2, -v31
	v_fmac_f16_e32 v31, 0xb8d2, v22
	v_fma_f16 v35, v89, 0xb8d2, -v35
	v_fma_f16 v87, v22, 0x3b76, -v14
	v_add_f16_e32 v5, v70, v5
	v_mul_f16_e32 v70, 0xb5c8, v1
	v_add_f16_e32 v77, v93, v77
	v_add_f16_e32 v16, v31, v16
	;; [unrolled: 1-line block ×4, first 2 shown]
	v_mul_f16_sdwa v31, v1, v28 dst_sel:DWORD dst_unused:UNUSED_PAD src0_sel:WORD_1 src1_sel:DWORD
	v_fmamk_f16 v35, v89, 0x3b76, v70
	v_mul_f16_e32 v87, 0xb1e1, v1
	v_add_f16_e32 v77, v90, v77
	v_add_f16_e32 v73, v162, v73
	v_fma_f16 v90, v22, 0xbbdd, -v31
	v_add_f16_e32 v6, v35, v6
	v_fmamk_f16 v35, v89, 0xbbdd, v87
	v_fmac_f16_e32 v31, 0xbbdd, v22
	v_fmac_f16_e32 v14, 0x3b76, v22
	v_fma_f16 v70, v89, 0x3b76, -v70
	v_add_f16_e32 v75, v92, v75
	v_add_f16_e32 v7, v35, v7
	v_fma_f16 v35, v89, 0xbbdd, -v87
	v_add_f16_e32 v91, v31, v30
	v_add_f16_e32 v30, v169, v73
	;; [unrolled: 1-line block ×5, first 2 shown]
	v_mul_f16_e32 v80, 0x3964, v1
	v_add_f16_e32 v92, v35, v36
	v_add_f16_sdwa v35, v115, v88 dst_sel:DWORD dst_unused:UNUSED_PAD src0_sel:WORD_1 src1_sel:DWORD
	v_add_f16_e32 v30, v176, v30
	v_pk_add_f16 v73, v2, v3 neg_lo:[0,1] neg_hi:[0,1]
	v_fma_f16 v31, v89, 0x39e9, -v80
	v_pk_add_f16 v2, v3, v2
	v_add_f16_sdwa v3, v121, v35 dst_sel:DWORD dst_unused:UNUSED_PAD src0_sel:WORD_1 src1_sel:DWORD
	v_add_f16_e32 v30, v178, v30
	v_mul_f16_sdwa v28, v73, v28 dst_sel:DWORD dst_unused:UNUSED_PAD src0_sel:WORD_1 src1_sel:DWORD
	v_add_f16_e32 v67, v31, v67
	v_pk_mul_f16 v31, 0xbbdd3b76, v2
	v_add_f16_sdwa v3, v126, v3 dst_sel:DWORD dst_unused:UNUSED_PAD src0_sel:WORD_1 src1_sel:DWORD
	v_add_f16_e32 v30, v86, v30
	v_fma_f16 v35, v2, 0xbbdd, -v28
	v_fmac_f16_e32 v28, 0xbbdd, v2
	v_pk_fma_f16 v36, 0x35c8b1e1, v73, v31 op_sel:[0,0,1] op_sel_hi:[1,1,0] neg_lo:[0,1,0] neg_hi:[0,1,0]
	v_pk_fma_f16 v31, 0x35c8b1e1, v73, v31 op_sel:[0,0,1] op_sel_hi:[1,1,0]
	v_add_f16_sdwa v3, v4, v3 dst_sel:DWORD dst_unused:UNUSED_PAD src0_sel:WORD_1 src1_sel:DWORD
	v_add_f16_e32 v4, v84, v30
	v_add_f16_e32 v45, v35, v45
	;; [unrolled: 1-line block ×3, first 2 shown]
	v_bfi_b32 v28, 0xffff, v31, v36
	v_lshrrev_b32_e32 v46, 16, v2
	v_mul_f16_e32 v30, 0x35c8, v73
	v_add_f16_sdwa v3, v78, v3 dst_sel:DWORD dst_unused:UNUSED_PAD src0_sel:WORD_1 src1_sel:DWORD
	v_add_f16_e32 v36, v36, v4
	v_mul_f16_sdwa v4, v73, v19 dst_sel:DWORD dst_unused:UNUSED_PAD src0_sel:WORD_1 src1_sel:DWORD
	v_mul_f16_sdwa v74, v1, v29 dst_sel:DWORD dst_unused:UNUSED_PAD src0_sel:WORD_1 src1_sel:DWORD
	v_fmamk_f16 v90, v89, 0x39e9, v80
	v_pk_add_f16 v19, v28, v83
	v_fmamk_f16 v28, v46, 0x3b76, v30
	v_add_f16_sdwa v3, v76, v3 dst_sel:DWORD dst_unused:UNUSED_PAD src0_sel:WORD_1 src1_sel:DWORD
	v_fma_f16 v76, v46, 0x3b76, -v30
	v_fma_f16 v78, v2, 0xbacd, -v4
	v_mul_f16_e32 v80, 0xb836, v73
	v_mul_f16_sdwa v29, v73, v29 dst_sel:DWORD dst_unused:UNUSED_PAD src0_sel:WORD_1 src1_sel:DWORD
	v_add_f16_e32 v28, v28, v72
	v_add_f16_sdwa v30, v31, v3 dst_sel:DWORD dst_unused:UNUSED_PAD src0_sel:WORD_1 src1_sel:DWORD
	v_add_f16_e32 v31, v76, v17
	v_add_f16_e32 v3, v78, v75
	v_fmac_f16_e32 v4, 0xbacd, v2
	v_fma_f16 v72, v46, 0xbacd, -v80
	v_mul_f16_e32 v75, 0x3964, v73
	v_fma_f16 v76, v2, 0x39e9, -v29
	v_mul_f16_sdwa v18, v73, v18 dst_sel:DWORD dst_unused:UNUSED_PAD src0_sel:WORD_1 src1_sel:DWORD
	v_add_f16_e32 v4, v4, v15
	v_add_f16_e32 v15, v72, v69
	v_fmamk_f16 v69, v46, 0x39e9, v75
	v_add_f16_e32 v72, v76, v77
	v_fmac_f16_e32 v29, 0x39e9, v2
	v_fma_f16 v75, v46, 0x39e9, -v75
	v_mul_f16_e32 v76, 0xba62, v73
	v_add_f16_e32 v5, v69, v5
	v_fma_f16 v69, v2, 0xb8d2, -v18
	v_add_f16_e32 v16, v29, v16
	v_add_f16_e32 v29, v75, v71
	v_fmac_f16_e32 v18, 0xb8d2, v2
	v_fma_f16 v75, v46, 0xb8d2, -v76
	v_pk_mul_f16 v42, 0x3b76, v42 op_sel_hi:[0,1]
	v_mul_f16_sdwa v20, v73, v20 dst_sel:DWORD dst_unused:UNUSED_PAD src0_sel:WORD_1 src1_sel:DWORD
	v_pk_mul_f16 v41, 0xbacd, v41 op_sel_hi:[0,1]
	v_add_f16_e32 v14, v18, v14
	v_add_f16_e32 v18, v75, v68
	v_pk_fma_f16 v75, 0x35c8, v40, v42 op_sel:[0,0,1] op_sel_hi:[0,1,0] neg_lo:[0,1,0] neg_hi:[0,1,0]
	v_pk_fma_f16 v40, 0x35c8, v40, v42 op_sel:[0,0,1] op_sel_hi:[0,1,0]
	v_fmamk_f16 v71, v46, 0xb8d2, v76
	v_fma_f16 v76, v2, 0x3722, -v20
	v_pk_mul_f16 v27, 0x39e9, v27 op_sel_hi:[0,1]
	v_pk_add_f16 v44, v75, v44
	v_pk_fma_f16 v75, 0xb836, v39, v41 op_sel:[0,0,1] op_sel_hi:[0,1,0] neg_lo:[0,1,0] neg_hi:[0,1,0]
	v_pk_add_f16 v40, v40, v43
	v_pk_fma_f16 v39, 0xb836, v39, v41 op_sel:[0,0,1] op_sel_hi:[0,1,0]
	v_add_f16_e32 v68, v76, v70
	v_mul_f16_e32 v76, 0xbbb2, v73
	v_pk_add_f16 v43, v75, v44
	v_pk_mul_f16 v25, 0xb8d2, v25 op_sel_hi:[0,1]
	v_pk_add_f16 v39, v39, v40
	v_pk_fma_f16 v40, 0x3964, v26, v27 op_sel:[0,0,1] op_sel_hi:[0,1,0] neg_lo:[0,1,0] neg_hi:[0,1,0]
	v_pk_fma_f16 v26, 0x3964, v26, v27 op_sel:[0,0,1] op_sel_hi:[0,1,0]
	v_mul_f16_e32 v77, 0x3b29, v73
	v_fmamk_f16 v17, v46, 0xbacd, v80
	v_fma_f16 v27, v46, 0xb461, -v76
	v_pk_add_f16 v40, v40, v43
	v_pk_add_f16 v26, v26, v39
	v_pk_fma_f16 v39, 0xba62, v24, v25 op_sel:[0,0,1] op_sel_hi:[0,1,0] neg_lo:[0,1,0] neg_hi:[0,1,0]
	v_pk_fma_f16 v24, 0xba62, v24, v25 op_sel:[0,0,1] op_sel_hi:[0,1,0]
	v_pk_mul_f16 v23, 0x3722, v23 op_sel_hi:[0,1]
	v_fma_f16 v87, v22, 0x39e9, -v74
	v_add_f16_e32 v6, v71, v6
	v_fmamk_f16 v70, v46, 0x3722, v77
	v_fma_f16 v71, v46, 0x3722, -v77
	v_mul_f16_sdwa v13, v73, v13 dst_sel:DWORD dst_unused:UNUSED_PAD src0_sel:WORD_1 src1_sel:DWORD
	v_fmac_f16_e32 v74, 0x39e9, v22
	v_add_f16_e32 v17, v17, v85
	v_add_f16_e32 v25, v27, v67
	v_alignbit_b32 v27, v28, v19, 16
	v_pk_add_f16 v28, v39, v40
	v_pk_add_f16 v24, v24, v26
	v_pk_fma_f16 v26, 0x3b29, v21, v23 op_sel:[0,0,1] op_sel_hi:[0,1,0] neg_lo:[0,1,0] neg_hi:[0,1,0]
	v_pk_mul_f16 v22, 0xb461, v22 op_sel_hi:[0,1]
	v_pk_fma_f16 v21, 0x3b29, v21, v23 op_sel:[0,0,1] op_sel_hi:[0,1,0]
	v_add_f16_e32 v82, v87, v82
	v_add_f16_e32 v7, v70, v7
	;; [unrolled: 1-line block ×3, first 2 shown]
	v_fma_f16 v71, v2, 0xb461, -v13
	v_fmac_f16_e32 v20, 0x3722, v2
	v_fmac_f16_e32 v13, 0xb461, v2
	v_pack_b32_f16 v3, v3, v17
	v_pk_add_f16 v17, v26, v28
	v_pk_fma_f16 v23, 0xbbb2, v1, v22 op_sel:[0,0,1] op_sel_hi:[0,1,0] neg_lo:[0,1,0] neg_hi:[0,1,0]
	v_pk_add_f16 v21, v21, v24
	v_pk_fma_f16 v22, 0xbbb2, v1, v22 op_sel:[0,0,1] op_sel_hi:[0,1,0]
	v_pk_mul_f16 v2, 0x2de8, v2 op_sel_hi:[0,1]
	v_add_f16_e32 v66, v90, v66
	v_add_f16_e32 v42, v71, v82
	v_fmamk_f16 v71, v46, 0xb461, v76
	v_pk_add_f16 v17, v23, v17
	v_mul_lo_u16 v23, v8, 17
	v_mov_b32_e32 v1, 2
	v_pk_add_f16 v21, v22, v21
	v_pk_fma_f16 v22, 0x3bf7, v73, v2 op_sel:[0,0,1] op_sel_hi:[0,1,0] neg_lo:[0,1,0] neg_hi:[0,1,0]
	v_pk_fma_f16 v2, 0x3bf7, v73, v2 op_sel:[0,0,1] op_sel_hi:[0,1,0]
	v_add_f16_e32 v74, v74, v81
	v_add_f16_e32 v69, v69, v79
	;; [unrolled: 1-line block ×3, first 2 shown]
	v_pack_b32_f16 v19, v45, v19
	v_lshlrev_b32_sdwa v45, v1, v23 dst_sel:DWORD dst_unused:UNUSED_PAD src0_sel:DWORD src1_sel:WORD_0
	v_pk_add_f16 v17, v22, v17
	v_pk_add_f16 v2, v2, v21
	v_add_f16_e32 v20, v20, v91
	v_add_f16_e32 v13, v13, v74
	v_pack_b32_f16 v5, v72, v5
	v_pack_b32_f16 v7, v68, v7
	;; [unrolled: 1-line block ×4, first 2 shown]
	ds_write2_b32 v45, v19, v27 offset0:1 offset1:2
	ds_write2_b32 v45, v3, v5 offset0:3 offset1:4
	;; [unrolled: 1-line block ×3, first 2 shown]
	ds_write2_b32 v45, v0, v23 offset1:7
	v_alignbit_b32 v0, v17, v2, 16
	v_alignbit_b32 v2, v2, v17, 16
	v_pack_b32_f16 v3, v20, v70
	v_pack_b32_f16 v5, v13, v25
	;; [unrolled: 1-line block ×7, first 2 shown]
	ds_write2_b32 v45, v2, v0 offset0:8 offset1:9
	ds_write2_b32 v45, v5, v3 offset0:10 offset1:11
	;; [unrolled: 1-line block ×4, first 2 shown]
	ds_write_b32 v45, v14 offset:64
	v_add_nc_u32_e32 v0, 0x200, v47
	v_add_nc_u32_e32 v2, 0xa00, v47
	s_waitcnt lgkmcnt(0)
	s_barrier
	buffer_gl0_inv
	ds_read2_b32 v[18:19], v47 offset1:85
	ds_read2_b32 v[16:17], v0 offset0:42 offset1:161
	ds_read2_b32 v[22:23], v11 offset0:66 offset1:151
	;; [unrolled: 1-line block ×6, first 2 shown]
	ds_read_b32 v41, v47 offset:5304
                                        ; implicit-def: $vgpr42
                                        ; implicit-def: $vgpr46
                                        ; implicit-def: $vgpr43
                                        ; implicit-def: $vgpr71
                                        ; implicit-def: $vgpr44
                                        ; implicit-def: $vgpr72
	s_and_saveexec_b32 s0, vcc_lo
	s_cbranch_execz .LBB0_3
; %bb.2:
	ds_read_b32 v30, v47 offset:1020
	ds_read_b32 v35, v47 offset:2176
	;; [unrolled: 1-line block ×5, first 2 shown]
	s_waitcnt lgkmcnt(4)
	v_lshrrev_b32_e32 v31, 16, v30
	s_waitcnt lgkmcnt(3)
	v_lshrrev_b32_e32 v36, 16, v35
	;; [unrolled: 2-line block ×5, first 2 shown]
.LBB0_3:
	s_or_b32 exec_lo, exec_lo, s0
	v_and_b32_e32 v0, 0xff, v63
	v_add_nc_u16 v4, v63, 0xaa
	v_mov_b32_e32 v7, 0xf0f1
	v_mov_b32_e32 v83, 0x55
	s_waitcnt lgkmcnt(6)
	v_lshrrev_b32_e32 v76, 16, v17
	v_mul_lo_u16 v0, 0xf1, v0
	v_and_b32_e32 v5, 0xff, v4
	s_waitcnt lgkmcnt(5)
	v_lshrrev_b32_e32 v77, 16, v22
	s_waitcnt lgkmcnt(4)
	v_lshrrev_b32_e32 v78, 16, v21
	;; [unrolled: 2-line block ×3, first 2 shown]
	v_lshrrev_b16 v68, 12, v0
	v_add_nc_u16 v0, v63, 0x55
	s_waitcnt lgkmcnt(2)
	v_lshrrev_b32_e32 v80, 16, v28
	v_lshrrev_b32_e32 v81, 16, v23
	s_waitcnt lgkmcnt(1)
	v_lshrrev_b32_e32 v82, 16, v24
	v_mul_lo_u16 v2, v68, 17
	v_and_b32_e32 v3, 0xff, v0
	v_mul_u32_u24_sdwa v68, v68, v83 dst_sel:DWORD dst_unused:UNUSED_PAD src0_sel:WORD_0 src1_sel:DWORD
	v_lshrrev_b32_e32 v84, 16, v27
	v_lshrrev_b32_e32 v86, 16, v29
	v_sub_nc_u16 v2, v63, v2
	v_mul_lo_u16 v3, 0xf1, v3
	s_waitcnt lgkmcnt(0)
	v_lshrrev_b32_e32 v89, 16, v41
	v_lshrrev_b32_e32 v87, 16, v20
	;; [unrolled: 1-line block ×3, first 2 shown]
	v_and_b32_e32 v69, 0xff, v2
	v_lshrrev_b16 v70, 12, v3
	v_add_nc_u16 v2, v63, 0xff
	v_mul_lo_u16 v3, 0xf1, v5
	v_lshrrev_b32_e32 v39, 16, v19
	v_lshlrev_b32_e32 v5, 4, v69
	v_mul_lo_u16 v6, v70, 17
	v_mul_u32_u24_sdwa v88, v70, v83 dst_sel:DWORD dst_unused:UNUSED_PAD src0_sel:WORD_0 src1_sel:DWORD
	v_lshrrev_b16 v73, 12, v3
	v_mul_u32_u24_sdwa v3, v2, v7 dst_sel:DWORD dst_unused:UNUSED_PAD src0_sel:WORD_0 src1_sel:DWORD
	global_load_dwordx4 v[12:15], v5, s[2:3]
	v_sub_nc_u16 v0, v0, v6
	v_add_lshl_u32 v70, v68, v69, 2
	v_mul_lo_u16 v5, v73, 17
	v_lshrrev_b32_e32 v66, 20, v3
	v_mul_u32_u24_sdwa v73, v73, v83 dst_sel:DWORD dst_unused:UNUSED_PAD src0_sel:WORD_0 src1_sel:DWORD
	v_and_b32_e32 v74, 0xff, v0
	v_lshrrev_b32_e32 v83, 16, v25
	v_sub_nc_u16 v0, v4, v5
	v_mul_lo_u16 v4, v66, 17
	v_lshrrev_b32_e32 v85, 16, v16
	v_lshlrev_b32_e32 v3, 4, v74
	v_add_lshl_u32 v69, v88, v74, 2
	v_and_b32_e32 v75, 0xff, v0
	v_sub_nc_u16 v67, v2, v4
	global_load_dwordx4 v[8:11], v3, s[2:3]
	v_lshlrev_b32_e32 v0, 4, v75
	v_lshlrev_b16 v2, 2, v67
	v_add_lshl_u32 v68, v73, v75, 2
	global_load_dwordx4 v[4:7], v0, s[2:3]
	v_lshlrev_b32_sdwa v0, v1, v2 dst_sel:DWORD dst_unused:UNUSED_PAD src0_sel:DWORD src1_sel:WORD_0
	global_load_dwordx4 v[0:3], v0, s[2:3]
	s_waitcnt vmcnt(0)
	s_barrier
	buffer_gl0_inv
	v_mul_f16_sdwa v73, v76, v12 dst_sel:DWORD dst_unused:UNUSED_PAD src0_sel:DWORD src1_sel:WORD_1
	v_mul_f16_sdwa v74, v17, v12 dst_sel:DWORD dst_unused:UNUSED_PAD src0_sel:DWORD src1_sel:WORD_1
	;; [unrolled: 1-line block ×8, first 2 shown]
	v_fma_f16 v73, v17, v12, -v73
	v_fmac_f16_e32 v74, v76, v12
	v_fma_f16 v75, v22, v13, -v75
	v_fmac_f16_e32 v88, v77, v13
	;; [unrolled: 2-line block ×4, first 2 shown]
	v_mul_f16_sdwa v78, v80, v8 dst_sel:DWORD dst_unused:UNUSED_PAD src0_sel:DWORD src1_sel:WORD_1
	v_mul_f16_sdwa v79, v28, v8 dst_sel:DWORD dst_unused:UNUSED_PAD src0_sel:DWORD src1_sel:WORD_1
	;; [unrolled: 1-line block ×24, first 2 shown]
	v_fma_f16 v28, v28, v8, -v78
	v_fmac_f16_e32 v79, v80, v8
	v_fma_f16 v78, v23, v9, -v90
	v_fmac_f16_e32 v92, v81, v9
	;; [unrolled: 2-line block ×8, first 2 shown]
	v_fma_f16 v24, v42, v1, -v107
	v_fma_f16 v23, v43, v2, -v108
	v_fmac_f16_e32 v17, v72, v3
	v_add_f16_e32 v29, v18, v73
	v_add_f16_e32 v35, v75, v76
	v_sub_f16_e32 v43, v74, v93
	v_sub_f16_e32 v36, v73, v75
	;; [unrolled: 1-line block ×3, first 2 shown]
	v_add_f16_e32 v42, v73, v77
	v_add_f16_e32 v72, v40, v74
	v_add_f16_e32 v86, v88, v91
	v_sub_f16_e32 v89, v74, v88
	v_sub_f16_e32 v90, v93, v91
	v_add_f16_e32 v94, v74, v93
	v_sub_f16_e32 v74, v88, v74
	v_sub_f16_e32 v96, v91, v93
	v_fma_f16 v82, v20, v5, -v100
	v_fmac_f16_e32 v101, v87, v5
	v_fmac_f16_e32 v22, v46, v1
	;; [unrolled: 1-line block ×3, first 2 shown]
	v_fma_f16 v20, v44, v3, -v109
	v_sub_f16_e32 v44, v88, v91
	v_sub_f16_e32 v46, v75, v73
	;; [unrolled: 1-line block ×5, first 2 shown]
	v_add_f16_e32 v75, v29, v75
	v_fma_f16 v98, -0.5, v35, v18
	v_add_f16_e32 v100, v36, v41
	v_fma_f16 v102, -0.5, v42, v18
	v_add_f16_e32 v35, v72, v88
	v_fma_f16 v86, -0.5, v86, v40
	v_add_f16_e32 v88, v89, v90
	v_add_f16_e32 v89, v74, v96
	;; [unrolled: 1-line block ×4, first 2 shown]
	v_sub_f16_e32 v74, v78, v28
	v_sub_f16_e32 v96, v80, v81
	v_add_f16_e32 v104, v39, v79
	v_add_f16_e32 v106, v92, v95
	v_fmac_f16_e32 v40, -0.5, v94
	v_add_f16_e32 v72, v28, v81
	v_add_f16_e32 v111, v79, v97
	v_add_f16_e32 v113, v16, v27
	v_add_f16_e32 v114, v82, v84
	v_add_f16_e32 v122, v85, v99
	v_add_f16_e32 v123, v101, v103
	v_add_f16_e32 v119, v27, v83
	v_add_f16_e32 v128, v99, v105
	v_add_f16_e32 v46, v46, v71
	v_sub_f16_e32 v90, v79, v97
	v_sub_f16_e32 v94, v92, v95
	;; [unrolled: 1-line block ×8, first 2 shown]
	v_add_f16_e32 v130, v24, v23
	v_add_f16_e32 v133, v25, v20
	;; [unrolled: 1-line block ×5, first 2 shown]
	v_fmamk_f16 v142, v43, 0x3b9c, v98
	v_fmac_f16_e32 v98, 0xbb9c, v43
	v_fmamk_f16 v143, v44, 0xbb9c, v102
	v_fmac_f16_e32 v102, 0x3b9c, v44
	v_add_f16_e32 v76, v35, v91
	v_fmamk_f16 v91, v73, 0xbb9c, v86
	v_add_f16_e32 v78, v36, v78
	v_fma_f16 v145, -0.5, v41, v19
	v_add_f16_e32 v96, v74, v96
	v_add_f16_e32 v74, v104, v92
	v_fma_f16 v92, -0.5, v106, v39
	v_fmac_f16_e32 v86, 0x3b9c, v73
	v_fmamk_f16 v144, v87, 0x3b9c, v40
	v_fmac_f16_e32 v40, 0xbb9c, v87
	v_fmac_f16_e32 v19, -0.5, v72
	v_fmac_f16_e32 v39, -0.5, v111
	v_sub_f16_e32 v115, v99, v105
	v_sub_f16_e32 v116, v101, v103
	;; [unrolled: 1-line block ×8, first 2 shown]
	v_add_f16_e32 v82, v113, v82
	v_fma_f16 v106, -0.5, v114, v16
	v_add_f16_e32 v101, v122, v101
	v_fma_f16 v111, -0.5, v123, v85
	v_sub_f16_e32 v110, v97, v95
	v_sub_f16_e32 v118, v83, v84
	v_fmac_f16_e32 v16, -0.5, v119
	v_fmac_f16_e32 v85, -0.5, v128
	v_sub_f16_e32 v27, v26, v17
	v_sub_f16_e32 v18, v22, v21
	;; [unrolled: 1-line block ×4, first 2 shown]
	v_add_f16_e32 v146, v42, v71
	v_fma_f16 v36, -0.5, v130, v30
	v_fma_f16 v71, -0.5, v133, v30
	;; [unrolled: 1-line block ×4, first 2 shown]
	v_fmac_f16_e32 v142, 0x38b4, v44
	v_fmac_f16_e32 v98, 0xb8b4, v44
	;; [unrolled: 1-line block ×4, first 2 shown]
	v_add_f16_e32 v43, v76, v93
	v_fmac_f16_e32 v91, 0xb8b4, v87
	v_add_f16_e32 v44, v78, v80
	v_fmamk_f16 v78, v90, 0x3b9c, v145
	v_fmamk_f16 v93, v107, 0xbb9c, v92
	v_sub_f16_e32 v112, v95, v97
	v_fmac_f16_e32 v86, 0x38b4, v87
	v_fmac_f16_e32 v144, 0xb8b4, v73
	;; [unrolled: 1-line block ×3, first 2 shown]
	v_fmamk_f16 v80, v94, 0xbb9c, v19
	v_fmac_f16_e32 v19, 0x3b9c, v94
	v_add_f16_e32 v87, v74, v95
	v_fmamk_f16 v95, v108, 0x3b9c, v39
	v_fmac_f16_e32 v39, 0xbb9c, v108
	v_fmac_f16_e32 v145, 0xbb9c, v90
	;; [unrolled: 1-line block ×3, first 2 shown]
	v_sub_f16_e32 v121, v84, v83
	v_sub_f16_e32 v127, v105, v103
	;; [unrolled: 1-line block ×3, first 2 shown]
	v_add_f16_e32 v82, v82, v84
	v_fmamk_f16 v84, v115, 0x3b9c, v106
	v_add_f16_e32 v101, v101, v103
	v_fmamk_f16 v103, v124, 0xbb9c, v111
	v_add_f16_e32 v104, v109, v110
	v_add_f16_e32 v109, v117, v118
	v_fmamk_f16 v117, v116, 0xbb9c, v16
	v_fmac_f16_e32 v16, 0x3b9c, v116
	v_fmamk_f16 v118, v125, 0x3b9c, v85
	v_fmac_f16_e32 v85, 0xbb9c, v125
	v_sub_f16_e32 v131, v25, v24
	v_sub_f16_e32 v132, v20, v23
	;; [unrolled: 1-line block ×8, first 2 shown]
	v_add_f16_e32 v77, v75, v77
	v_fmac_f16_e32 v106, 0xbb9c, v115
	v_fmac_f16_e32 v111, 0x3b9c, v124
	v_fmamk_f16 v73, v27, 0xbb9c, v36
	v_fmamk_f16 v74, v18, 0xbb9c, v71
	v_fmac_f16_e32 v71, 0x3b9c, v18
	v_fmamk_f16 v75, v29, 0x3b9c, v42
	v_fmamk_f16 v76, v28, 0x3b9c, v72
	v_fmac_f16_e32 v72, 0xbb9c, v28
	v_fmac_f16_e32 v142, 0x34f2, v100
	;; [unrolled: 1-line block ×5, first 2 shown]
	v_add_f16_e32 v79, v79, v112
	v_fmac_f16_e32 v143, 0x34f2, v46
	v_fmac_f16_e32 v102, 0x34f2, v46
	;; [unrolled: 1-line block ×12, first 2 shown]
	v_add_f16_e32 v112, v126, v127
	v_fmac_f16_e32 v84, 0x38b4, v116
	v_fmac_f16_e32 v103, 0xb8b4, v125
	v_add_f16_e32 v110, v120, v121
	v_add_f16_e32 v99, v99, v129
	v_fmac_f16_e32 v117, 0x38b4, v115
	v_fmac_f16_e32 v16, 0xb8b4, v115
	;; [unrolled: 1-line block ×4, first 2 shown]
	v_add_f16_e32 v35, v131, v132
	v_add_f16_e32 v113, v134, v135
	;; [unrolled: 1-line block ×6, first 2 shown]
	v_fmac_f16_e32 v106, 0xb8b4, v116
	v_fmac_f16_e32 v111, 0x38b4, v125
	;; [unrolled: 1-line block ×8, first 2 shown]
	v_pack_b32_f16 v43, v77, v43
	v_fmac_f16_e32 v78, 0x34f2, v146
	v_fmac_f16_e32 v93, 0x34f2, v104
	v_pack_b32_f16 v77, v142, v91
	v_fmac_f16_e32 v80, 0x34f2, v96
	v_fmac_f16_e32 v19, 0x34f2, v96
	;; [unrolled: 1-line block ×4, first 2 shown]
	v_pack_b32_f16 v79, v143, v144
	v_pack_b32_f16 v40, v102, v40
	v_add_f16_e32 v81, v82, v83
	v_fmac_f16_e32 v145, 0x34f2, v146
	v_fmac_f16_e32 v92, 0x34f2, v104
	v_pack_b32_f16 v83, v98, v86
	v_add_f16_e32 v82, v101, v105
	v_fmac_f16_e32 v84, 0x34f2, v109
	v_fmac_f16_e32 v103, 0x34f2, v112
	;; [unrolled: 1-line block ×14, first 2 shown]
	v_pack_b32_f16 v44, v44, v46
	ds_write2_b32 v70, v43, v77 offset1:17
	ds_write2_b32 v70, v79, v40 offset0:34 offset1:51
	ds_write_b32 v70, v83 offset:272
	v_pack_b32_f16 v40, v78, v93
	v_pack_b32_f16 v43, v80, v95
	;; [unrolled: 1-line block ×9, first 2 shown]
	ds_write2_b32 v69, v44, v40 offset1:17
	ds_write2_b32 v69, v43, v19 offset0:34 offset1:51
	ds_write_b32 v69, v39 offset:272
	ds_write2_b32 v68, v46, v77 offset1:17
	ds_write2_b32 v68, v78, v16 offset0:34 offset1:51
	ds_write_b32 v68, v79 offset:272
	s_and_saveexec_b32 s0, vcc_lo
	s_cbranch_execz .LBB0_5
; %bb.4:
	v_mul_f16_e32 v16, 0x3b9c, v29
	v_mul_f16_e32 v19, 0x3b9c, v27
	v_add_f16_e32 v26, v31, v26
	v_add_f16_e32 v25, v30, v25
	v_mul_f16_e32 v27, 0x38b4, v28
	v_sub_f16_e32 v16, v42, v16
	v_mul_f16_e32 v18, 0x38b4, v18
	v_add_f16_e32 v22, v26, v22
	v_add_f16_e32 v24, v25, v24
	v_add_f16_e32 v19, v36, v19
	v_mul_f16_e32 v26, 0x34f2, v41
	v_sub_f16_e32 v16, v16, v27
	v_add_f16_e32 v21, v22, v21
	v_mul_f16_e32 v22, 0x34f2, v35
	v_add_f16_e32 v23, v24, v23
	v_add_f16_e32 v18, v18, v19
	;; [unrolled: 1-line block ×4, first 2 shown]
	v_mad_u16 v19, 0x55, v66, v67
	v_mov_b32_e32 v21, 2
	v_add_f16_e32 v20, v23, v20
	v_add_f16_e32 v18, v22, v18
	v_lshlrev_b32_sdwa v19, v21, v19 dst_sel:DWORD dst_unused:UNUSED_PAD src0_sel:DWORD src1_sel:WORD_0
	v_pack_b32_f16 v17, v20, v17
	v_pack_b32_f16 v16, v18, v16
	v_perm_b32 v18, v76, v74, 0x5040100
	v_perm_b32 v20, v72, v71, 0x5040100
	;; [unrolled: 1-line block ×3, first 2 shown]
	ds_write2_b32 v19, v17, v16 offset1:17
	ds_write2_b32 v19, v18, v20 offset0:34 offset1:51
	ds_write_b32 v19, v21 offset:272
.LBB0_5:
	s_or_b32 exec_lo, exec_lo, s0
	v_lshlrev_b32_e32 v16, 6, v63
	s_waitcnt lgkmcnt(0)
	s_barrier
	buffer_gl0_inv
	v_add_nc_u32_e32 v40, 0x600, v47
	s_clause 0x3
	global_load_dwordx4 v[28:31], v16, s[2:3] offset:272
	global_load_dwordx4 v[24:27], v16, s[2:3] offset:288
	;; [unrolled: 1-line block ×4, first 2 shown]
	ds_read2_b32 v[35:36], v47 offset1:85
	v_add_nc_u32_e32 v46, 0x800, v47
	v_add_nc_u32_e32 v39, 0xc00, v47
	;; [unrolled: 1-line block ×5, first 2 shown]
	ds_read2_b32 v[81:82], v47 offset0:170 offset1:255
	ds_read_b32 v102, v47 offset:5440
	ds_read2_b32 v[85:86], v77 offset0:84 offset1:169
	ds_read2_b32 v[95:96], v40 offset0:126 offset1:211
	;; [unrolled: 1-line block ×6, first 2 shown]
	s_waitcnt lgkmcnt(8)
	v_lshrrev_b32_e32 v43, 16, v36
	s_waitcnt lgkmcnt(7)
	v_lshrrev_b32_e32 v89, 16, v81
	v_lshrrev_b32_e32 v90, 16, v82
	s_waitcnt lgkmcnt(4)
	v_lshrrev_b32_e32 v116, 16, v96
	s_waitcnt lgkmcnt(3)
	;; [unrolled: 2-line block ×3, first 2 shown]
	v_lshrrev_b32_e32 v123, 16, v111
	v_lshrrev_b32_e32 v124, 16, v112
	;; [unrolled: 1-line block ×11, first 2 shown]
	s_waitcnt vmcnt(3)
	v_mul_f16_sdwa v100, v43, v28 dst_sel:DWORD dst_unused:UNUSED_PAD src0_sel:DWORD src1_sel:WORD_1
	v_mul_f16_sdwa v125, v36, v28 dst_sel:DWORD dst_unused:UNUSED_PAD src0_sel:DWORD src1_sel:WORD_1
	;; [unrolled: 1-line block ×3, first 2 shown]
	s_waitcnt vmcnt(2)
	v_mul_f16_sdwa v130, v116, v26 dst_sel:DWORD dst_unused:UNUSED_PAD src0_sel:DWORD src1_sel:WORD_1
	v_mul_f16_sdwa v131, v117, v27 dst_sel:DWORD dst_unused:UNUSED_PAD src0_sel:DWORD src1_sel:WORD_1
	s_waitcnt vmcnt(0)
	v_mul_f16_sdwa v137, v123, v17 dst_sel:DWORD dst_unused:UNUSED_PAD src0_sel:DWORD src1_sel:WORD_1
	v_mul_f16_sdwa v138, v124, v18 dst_sel:DWORD dst_unused:UNUSED_PAD src0_sel:DWORD src1_sel:WORD_1
	v_fma_f16 v140, v36, v28, -v100
	v_mul_f16_sdwa v107, v81, v29 dst_sel:DWORD dst_unused:UNUSED_PAD src0_sel:DWORD src1_sel:WORD_1
	v_mul_f16_sdwa v126, v90, v30 dst_sel:DWORD dst_unused:UNUSED_PAD src0_sel:DWORD src1_sel:WORD_1
	;; [unrolled: 1-line block ×9, first 2 shown]
	v_fmac_f16_e32 v125, v43, v28
	v_fma_f16 v108, v81, v29, -v103
	v_fma_f16 v81, v96, v26, -v130
	;; [unrolled: 1-line block ×5, first 2 shown]
	v_add_f16_e32 v111, v35, v140
	v_mul_f16_sdwa v127, v113, v31 dst_sel:DWORD dst_unused:UNUSED_PAD src0_sel:DWORD src1_sel:WORD_1
	v_mul_f16_sdwa v129, v115, v25 dst_sel:DWORD dst_unused:UNUSED_PAD src0_sel:DWORD src1_sel:WORD_1
	;; [unrolled: 1-line block ×6, first 2 shown]
	v_fmac_f16_e32 v107, v89, v29
	v_fma_f16 v103, v82, v30, -v126
	v_fmac_f16_e32 v101, v90, v30
	v_fmac_f16_e32 v83, v115, v25
	v_fma_f16 v90, v109, v23, -v135
	v_fmac_f16_e32 v93, v124, v18
	v_add_f16_sdwa v112, v35, v125 dst_sel:DWORD dst_unused:UNUSED_PAD src0_sel:WORD_1 src1_sel:DWORD
	v_add_f16_e32 v109, v108, v96
	v_sub_f16_e32 v115, v108, v96
	v_add_f16_e32 v108, v111, v108
	v_mul_f16_sdwa v99, v85, v31 dst_sel:DWORD dst_unused:UNUSED_PAD src0_sel:DWORD src1_sel:WORD_1
	v_mul_f16_sdwa v128, v114, v24 dst_sel:DWORD dst_unused:UNUSED_PAD src0_sel:DWORD src1_sel:WORD_1
	;; [unrolled: 1-line block ×7, first 2 shown]
	v_fma_f16 v100, v85, v31, -v127
	v_fmac_f16_e32 v44, v116, v26
	v_fmac_f16_e32 v41, v117, v27
	v_fma_f16 v43, v98, v20, -v132
	v_fmac_f16_e32 v80, v119, v21
	v_fma_f16 v98, v110, v16, -v136
	v_fmac_f16_e32 v92, v123, v17
	v_add_f16_e32 v110, v107, v93
	v_sub_f16_e32 v116, v107, v93
	v_add_f16_e32 v117, v103, v97
	v_sub_f16_e32 v119, v103, v97
	v_add_f16_e32 v107, v112, v107
	v_add_f16_e32 v103, v108, v103
	v_mul_f16_sdwa v87, v86, v24 dst_sel:DWORD dst_unused:UNUSED_PAD src0_sel:DWORD src1_sel:WORD_1
	v_mul_f16_sdwa v134, v120, v22 dst_sel:DWORD dst_unused:UNUSED_PAD src0_sel:DWORD src1_sel:WORD_1
	;; [unrolled: 1-line block ×3, first 2 shown]
	v_fmac_f16_e32 v99, v113, v31
	v_fma_f16 v89, v86, v24, -v128
	v_fma_f16 v85, v95, v25, -v129
	v_fmac_f16_e32 v42, v118, v20
	v_fmac_f16_e32 v84, v120, v22
	;; [unrolled: 1-line block ×4, first 2 shown]
	v_fma_f16 v95, v102, v19, -v139
	v_add_f16_e32 v118, v101, v92
	v_sub_f16_e32 v120, v101, v92
	v_add_f16_e32 v102, v100, v98
	v_sub_f16_e32 v121, v100, v98
	v_add_f16_e32 v101, v107, v101
	v_add_f16_e32 v100, v103, v100
	v_fmac_f16_e32 v87, v114, v24
	v_fma_f16 v82, v104, v21, -v133
	v_sub_f16_e32 v104, v99, v91
	v_add_f16_e32 v122, v99, v91
	v_add_f16_e32 v99, v101, v99
	;; [unrolled: 1-line block ×3, first 2 shown]
	v_fmac_f16_e32 v94, v106, v19
	v_fma_f16 v86, v105, v22, -v134
	v_add_f16_e32 v105, v140, v95
	v_add_f16_e32 v99, v99, v87
	;; [unrolled: 1-line block ×3, first 2 shown]
	v_sub_f16_e32 v114, v125, v94
	v_sub_f16_e32 v113, v140, v95
	v_add_f16_e32 v106, v125, v94
	v_add_f16_e32 v99, v99, v83
	;; [unrolled: 1-line block ×3, first 2 shown]
	v_mul_f16_e32 v111, 0xb5c8, v114
	v_mul_f16_e32 v123, 0xb964, v114
	v_mul_f16_e32 v112, 0xb5c8, v113
	v_add_f16_e32 v99, v99, v44
	v_add_f16_e32 v100, v100, v36
	v_mul_f16_e32 v124, 0xb964, v113
	v_mul_f16_e32 v125, 0xbb29, v114
	v_mul_f16_e32 v126, 0xbb29, v113
	v_add_f16_e32 v99, v99, v41
	v_add_f16_e32 v100, v100, v43
	;; [unrolled: 5-line block ×3, first 2 shown]
	v_mul_f16_e32 v130, 0xbbb2, v113
	v_mul_f16_e32 v131, 0xba62, v114
	v_mul_f16_e32 v132, 0xba62, v113
	v_mul_f16_e32 v133, 0xb836, v114
	v_mul_f16_e32 v134, 0xb836, v113
	v_mul_f16_e32 v114, 0xb1e1, v114
	v_mul_f16_e32 v113, 0xb1e1, v113
	v_mul_f16_e32 v135, 0xb964, v116
	v_mul_f16_e32 v137, 0xbbf7, v116
	v_fma_f16 v107, v105, 0x3b76, -v111
	v_fma_f16 v169, v105, 0x39e9, -v123
	v_add_f16_e32 v99, v99, v80
	v_add_f16_e32 v100, v100, v86
	v_mul_f16_e32 v136, 0xb964, v115
	v_mul_f16_e32 v138, 0xbbf7, v115
	;; [unrolled: 1-line block ×15, first 2 shown]
	v_fmamk_f16 v108, v106, 0x3b76, v112
	v_fmac_f16_e32 v111, 0x3b76, v105
	v_fma_f16 v112, v106, 0x3b76, -v112
	v_fmamk_f16 v170, v106, 0x39e9, v124
	v_fmac_f16_e32 v123, 0x39e9, v105
	v_fma_f16 v124, v106, 0x39e9, -v124
	v_fma_f16 v171, v105, 0x3722, -v125
	v_fmamk_f16 v172, v106, 0x3722, v126
	v_fmac_f16_e32 v125, 0x3722, v105
	v_fma_f16 v126, v106, 0x3722, -v126
	v_fma_f16 v173, v105, 0x2de8, -v127
	v_fmamk_f16 v174, v106, 0x2de8, v128
	v_fmac_f16_e32 v127, 0x2de8, v105
	v_fma_f16 v128, v106, 0x2de8, -v128
	v_fma_f16 v175, v105, 0xb461, -v129
	v_fmamk_f16 v176, v106, 0xb461, v130
	v_fmac_f16_e32 v129, 0xb461, v105
	v_fma_f16 v130, v106, 0xb461, -v130
	v_fma_f16 v177, v105, 0xb8d2, -v131
	v_fmamk_f16 v178, v106, 0xb8d2, v132
	v_fmac_f16_e32 v131, 0xb8d2, v105
	v_fma_f16 v132, v106, 0xb8d2, -v132
	v_fma_f16 v179, v105, 0xbacd, -v133
	v_fmamk_f16 v180, v106, 0xbacd, v134
	v_fmac_f16_e32 v133, 0xbacd, v105
	v_fma_f16 v134, v106, 0xbacd, -v134
	v_fma_f16 v181, v105, 0xbbdd, -v114
	v_fmamk_f16 v182, v106, 0xbbdd, v113
	v_fmac_f16_e32 v114, 0xbbdd, v105
	v_fma_f16 v105, v106, 0xbbdd, -v113
	v_fma_f16 v106, v109, 0x39e9, -v135
	v_fma_f16 v183, v109, 0x2de8, -v137
	v_add_f16_e32 v107, v35, v107
	v_add_f16_e32 v169, v35, v169
	v_add_f16_e32 v99, v99, v84
	v_add_f16_e32 v100, v100, v90
	v_mul_f16_e32 v149, 0xbb29, v120
	v_mul_f16_e32 v150, 0xbb29, v119
	;; [unrolled: 1-line block ×16, first 2 shown]
	v_fmamk_f16 v113, v110, 0x39e9, v136
	v_fmac_f16_e32 v135, 0x39e9, v109
	v_fma_f16 v136, v110, 0x39e9, -v136
	v_fmamk_f16 v184, v110, 0x2de8, v138
	v_fmac_f16_e32 v137, 0x2de8, v109
	v_fma_f16 v138, v110, 0x2de8, -v138
	v_fma_f16 v185, v109, 0xb8d2, -v139
	v_fmac_f16_e32 v139, 0xb8d2, v109
	v_fma_f16 v187, v109, 0xbbdd, -v141
	v_fmac_f16_e32 v141, 0xbbdd, v109
	v_fma_f16 v189, v109, 0xbacd, -v143
	v_fmac_f16_e32 v143, 0xbacd, v109
	v_fma_f16 v191, v109, 0xb461, -v145
	v_fmac_f16_e32 v145, 0xb461, v109
	v_fma_f16 v193, v109, 0x3722, -v147
	v_fmac_f16_e32 v147, 0x3722, v109
	v_fma_f16 v195, v109, 0x3b76, -v116
	v_fmac_f16_e32 v116, 0x3b76, v109
	v_fma_f16 v109, v110, 0x3b76, -v115
	v_fma_f16 v197, v117, 0xb8d2, -v151
	v_add_f16_sdwa v108, v35, v108 dst_sel:DWORD dst_unused:UNUSED_PAD src0_sel:WORD_1 src1_sel:DWORD
	v_add_f16_e32 v111, v35, v111
	v_add_f16_sdwa v112, v35, v112 dst_sel:DWORD dst_unused:UNUSED_PAD src0_sel:WORD_1 src1_sel:DWORD
	v_add_f16_sdwa v170, v35, v170 dst_sel:DWORD dst_unused:UNUSED_PAD src0_sel:WORD_1 src1_sel:DWORD
	v_add_f16_e32 v123, v35, v123
	v_add_f16_sdwa v124, v35, v124 dst_sel:DWORD dst_unused:UNUSED_PAD src0_sel:WORD_1 src1_sel:DWORD
	v_add_f16_e32 v171, v35, v171
	;; [unrolled: 2-line block ×14, first 2 shown]
	v_add_f16_e32 v107, v183, v169
	v_add_f16_e32 v99, v99, v88
	;; [unrolled: 1-line block ×3, first 2 shown]
	v_mul_f16_e32 v163, 0xbbf7, v104
	v_mul_f16_e32 v164, 0xbbf7, v121
	;; [unrolled: 1-line block ×3, first 2 shown]
	v_fmamk_f16 v186, v110, 0xb8d2, v140
	v_fma_f16 v140, v110, 0xb8d2, -v140
	v_fmamk_f16 v188, v110, 0xbbdd, v142
	v_fma_f16 v142, v110, 0xbbdd, -v142
	;; [unrolled: 2-line block ×6, first 2 shown]
	v_fmamk_f16 v115, v118, 0x3722, v150
	v_fmac_f16_e32 v149, 0x3722, v117
	v_fma_f16 v150, v118, 0x3722, -v150
	v_fmamk_f16 v198, v118, 0xb8d2, v152
	v_fmac_f16_e32 v151, 0xb8d2, v117
	v_fma_f16 v152, v118, 0xb8d2, -v152
	v_fma_f16 v199, v117, 0xbbdd, -v153
	v_fmamk_f16 v200, v118, 0xbbdd, v154
	v_fmac_f16_e32 v153, 0xbbdd, v117
	v_fma_f16 v154, v118, 0xbbdd, -v154
	;; [unrolled: 4-line block ×6, first 2 shown]
	v_fma_f16 v209, v117, 0xbacd, -v120
	v_fmac_f16_e32 v120, 0xbacd, v117
	v_fmamk_f16 v117, v118, 0xbacd, v119
	v_fma_f16 v118, v118, 0xbacd, -v119
	v_fma_f16 v211, v102, 0xbbdd, -v165
	v_add_f16_e32 v103, v113, v108
	v_add_f16_e32 v106, v136, v112
	;; [unrolled: 1-line block ×7, first 2 shown]
	v_fma_f16 v119, v102, 0x2de8, -v163
	v_fmamk_f16 v210, v122, 0x2de8, v164
	v_fmamk_f16 v212, v122, 0xbbdd, v166
	v_fma_f16 v166, v122, 0xbbdd, -v166
	v_add_f16_e32 v124, v139, v125
	v_add_f16_e32 v125, v140, v126
	;; [unrolled: 1-line block ×10, first 2 shown]
	v_mul_f16_e32 v107, 0x35c8, v104
	v_add_f16_e32 v105, v135, v111
	v_add_f16_e32 v111, v137, v123
	;; [unrolled: 1-line block ×7, first 2 shown]
	v_fma_f16 v110, v102, 0x3b76, -v107
	v_mul_f16_e32 v167, 0x3bb2, v104
	v_mul_f16_e32 v168, 0x3bb2, v121
	v_fma_f16 v164, v122, 0x2de8, -v164
	v_fmac_f16_e32 v165, 0xbbdd, v102
	v_add_f16_e32 v108, v184, v170
	v_add_f16_e32 v113, v185, v171
	;; [unrolled: 1-line block ×10, first 2 shown]
	v_mul_f16_e32 v116, 0xbb29, v121
	v_fmac_f16_e32 v163, 0x2de8, v102
	v_fma_f16 v213, v102, 0xb461, -v167
	v_add_f16_e32 v127, v141, v127
	v_add_f16_e32 v138, v191, v177
	;; [unrolled: 1-line block ×17, first 2 shown]
	v_fmamk_f16 v106, v122, 0xb461, v168
	v_fmac_f16_e32 v167, 0xb461, v102
	v_mul_f16_e32 v109, 0x35c8, v121
	v_mul_f16_e32 v117, 0xb836, v104
	v_fmamk_f16 v118, v122, 0x3722, v116
	v_fma_f16 v116, v122, 0x3722, -v116
	v_add_f16_e32 v136, v189, v175
	v_add_f16_e32 v124, v155, v127
	v_add_f16_e32 v130, v205, v138
	v_add_f16_e32 v131, v159, v131
	v_add_f16_e32 v93, v163, v105
	v_add_f16_e32 v91, v91, v94
	v_add_f16_e32 v94, v212, v108
	v_add_f16_e32 v105, v213, v111
	v_fma_f16 v108, v122, 0xb461, -v168
	v_add_f16_e32 v106, v106, v112
	v_add_f16_e32 v111, v167, v113
	v_fmamk_f16 v112, v122, 0x3b76, v109
	v_mul_f16_e32 v113, 0xbb29, v104
	v_fmac_f16_e32 v107, 0x3b76, v102
	v_fma_f16 v109, v122, 0x3b76, -v109
	v_fma_f16 v119, v102, 0xbacd, -v117
	v_add_f16_e32 v116, v116, v129
	v_fmac_f16_e32 v117, 0xbacd, v102
	v_sub_f16_e32 v129, v87, v88
	v_add_f16_e32 v126, v203, v136
	v_add_f16_e32 v114, v120, v114
	;; [unrolled: 1-line block ×3, first 2 shown]
	v_fma_f16 v115, v102, 0x3722, -v113
	v_add_f16_e32 v107, v107, v124
	v_add_f16_e32 v109, v109, v125
	v_fmac_f16_e32 v113, 0x3722, v102
	v_mul_f16_e32 v120, 0xb836, v121
	v_add_f16_e32 v119, v119, v130
	v_mul_f16_e32 v124, 0x3a62, v104
	v_mul_f16_e32 v125, 0x3a62, v121
	v_add_f16_e32 v117, v117, v131
	v_mul_f16_e32 v104, 0x3964, v104
	;; [unrolled: 3-line block ×3, first 2 shown]
	v_sub_f16_e32 v89, v89, v90
	v_add_f16_e32 v115, v115, v126
	v_add_f16_e32 v113, v113, v128
	v_fma_f16 v126, v102, 0xb8d2, -v124
	v_fmac_f16_e32 v124, 0xb8d2, v102
	v_fma_f16 v128, v102, 0x39e9, -v104
	v_fmac_f16_e32 v104, 0x39e9, v102
	v_fma_f16 v90, v122, 0x39e9, -v121
	v_add_f16_e32 v87, v87, v88
	v_fma_f16 v88, v130, 0xb461, -v131
	v_mul_f16_e32 v102, 0xbbb2, v89
	v_add_f16_e32 v142, v195, v181
	v_add_f16_e32 v90, v90, v92
	;; [unrolled: 1-line block ×4, first 2 shown]
	v_fmamk_f16 v92, v87, 0xb461, v102
	v_mul_f16_e32 v98, 0x3836, v129
	v_add_f16_e32 v99, v209, v142
	v_fma_f16 v102, v87, 0xb461, -v102
	v_mul_f16_e32 v114, 0x3836, v89
	v_add_f16_e32 v92, v92, v101
	v_fma_f16 v101, v130, 0xbacd, -v98
	v_add_f16_e32 v135, v188, v174
	v_add_f16_e32 v137, v190, v176
	;; [unrolled: 1-line block ×3, first 2 shown]
	v_fmamk_f16 v128, v122, 0x39e9, v121
	v_add_f16_e32 v96, v102, v96
	v_fmamk_f16 v102, v87, 0xbacd, v114
	v_mul_f16_e32 v121, 0x3964, v129
	v_add_f16_e32 v97, v101, v97
	v_fmac_f16_e32 v98, 0xbacd, v130
	v_fma_f16 v101, v87, 0xbacd, -v114
	v_add_f16_e32 v123, v202, v135
	v_add_f16_e32 v127, v204, v137
	;; [unrolled: 1-line block ×3, first 2 shown]
	v_fma_f16 v102, v130, 0x39e9, -v121
	v_mul_f16_e32 v114, 0x3964, v89
	v_add_f16_e32 v95, v98, v95
	v_add_f16_e32 v98, v101, v103
	v_mul_f16_e32 v101, 0xbb29, v129
	v_add_f16_e32 v112, v112, v123
	v_add_f16_e32 v118, v118, v127
	v_fmamk_f16 v123, v122, 0xbacd, v120
	v_fma_f16 v120, v122, 0xbacd, -v120
	v_fmamk_f16 v127, v122, 0xb8d2, v125
	v_fma_f16 v125, v122, 0xb8d2, -v125
	v_add_f16_e32 v102, v102, v105
	v_fmamk_f16 v103, v87, 0x39e9, v114
	v_fmac_f16_e32 v121, 0x39e9, v130
	v_fma_f16 v105, v87, 0x39e9, -v114
	v_fma_f16 v114, v130, 0x3722, -v101
	v_mul_f16_e32 v122, 0xbb29, v89
	v_add_f16_e32 v103, v103, v106
	v_add_f16_e32 v106, v121, v111
	;; [unrolled: 1-line block ×4, first 2 shown]
	v_fmamk_f16 v110, v87, 0x3722, v122
	v_mul_f16_e32 v111, 0xb1e1, v129
	v_fmac_f16_e32 v101, 0x3722, v130
	v_fma_f16 v114, v87, 0x3722, -v122
	v_mul_f16_e32 v121, 0xb1e1, v89
	v_add_f16_e32 v110, v110, v112
	v_fma_f16 v112, v130, 0xbbdd, -v111
	v_add_f16_e32 v132, v146, v132
	v_add_f16_e32 v140, v193, v179
	;; [unrolled: 1-line block ×4, first 2 shown]
	v_fmamk_f16 v109, v87, 0xbbdd, v121
	v_mul_f16_e32 v114, 0x3bf7, v129
	v_add_f16_e32 v112, v112, v115
	v_fmac_f16_e32 v111, 0xbbdd, v130
	v_fma_f16 v115, v87, 0xbbdd, -v121
	v_add_f16_e32 v139, v192, v178
	v_add_f16_e32 v132, v160, v132
	;; [unrolled: 1-line block ×4, first 2 shown]
	v_fma_f16 v118, v130, 0x2de8, -v114
	v_mul_f16_e32 v121, 0x3bf7, v89
	v_add_f16_e32 v111, v111, v113
	v_add_f16_e32 v113, v115, v116
	v_mul_f16_e32 v115, 0xb5c8, v129
	v_add_f16_e32 v133, v147, v133
	v_add_f16_e32 v135, v206, v139
	;; [unrolled: 1-line block ×5, first 2 shown]
	v_fmamk_f16 v118, v87, 0x2de8, v121
	v_fmac_f16_e32 v114, 0x2de8, v130
	v_fma_f16 v119, v87, 0x2de8, -v121
	v_fma_f16 v121, v130, 0x3b76, -v115
	v_add_f16_e32 v133, v161, v133
	v_add_f16_e32 v123, v123, v135
	;; [unrolled: 1-line block ×5, first 2 shown]
	v_mul_f16_e32 v121, 0xba62, v129
	v_add_f16_e32 v124, v124, v133
	v_add_f16_e32 v118, v118, v123
	v_fmac_f16_e32 v115, 0x3b76, v130
	v_mul_f16_e32 v122, 0xb5c8, v89
	v_fma_f16 v123, v130, 0xb8d2, -v121
	v_mul_f16_e32 v89, 0xba62, v89
	v_fmac_f16_e32 v121, 0xb8d2, v130
	v_add_f16_e32 v115, v115, v124
	v_sub_f16_e32 v124, v83, v84
	v_add_f16_e32 v99, v123, v99
	v_add_f16_e32 v123, v85, v86
	v_sub_f16_e32 v85, v85, v86
	v_fmamk_f16 v120, v87, 0x3b76, v122
	v_fma_f16 v122, v87, 0x3b76, -v122
	v_fmamk_f16 v126, v87, 0xb8d2, v89
	v_mul_f16_e32 v86, 0xba62, v124
	v_fma_f16 v87, v87, 0xb8d2, -v89
	v_add_f16_e32 v83, v83, v84
	v_mul_f16_e32 v84, 0xba62, v85
	v_add_f16_e32 v134, v148, v134
	v_fmac_f16_e32 v131, 0xb461, v130
	v_fma_f16 v89, v123, 0xb8d2, -v86
	v_add_f16_e32 v104, v121, v104
	v_add_f16_e32 v87, v87, v90
	v_mul_f16_e32 v90, 0x3bb2, v124
	v_fmamk_f16 v121, v83, 0xb8d2, v84
	v_add_f16_e32 v134, v162, v134
	v_add_f16_e32 v93, v131, v93
	;; [unrolled: 1-line block ×3, first 2 shown]
	v_fmac_f16_e32 v86, 0xb8d2, v123
	v_fma_f16 v84, v83, 0xb8d2, -v84
	v_fma_f16 v89, v123, 0xb461, -v90
	v_add_f16_e32 v92, v121, v92
	v_mul_f16_e32 v121, 0x3bb2, v85
	v_add_f16_e32 v125, v125, v134
	v_add_f16_e32 v86, v86, v93
	;; [unrolled: 1-line block ×4, first 2 shown]
	v_mul_f16_e32 v93, 0xb5c8, v124
	v_fmamk_f16 v96, v83, 0xb461, v121
	v_fma_f16 v97, v83, 0xb461, -v121
	v_mul_f16_e32 v121, 0xb5c8, v85
	v_add_f16_e32 v122, v122, v125
	v_fmac_f16_e32 v90, 0xb461, v123
	v_fma_f16 v125, v123, 0x3b76, -v93
	v_add_f16_e32 v94, v96, v94
	v_fmamk_f16 v96, v83, 0x3b76, v121
	v_fmac_f16_e32 v93, 0x3b76, v123
	v_add_f16_e32 v90, v90, v95
	v_add_f16_e32 v95, v97, v98
	;; [unrolled: 1-line block ×3, first 2 shown]
	v_mul_f16_e32 v98, 0xb836, v124
	v_fma_f16 v102, v83, 0x3b76, -v121
	v_add_f16_e32 v96, v96, v103
	v_mul_f16_e32 v103, 0xb836, v85
	v_add_f16_e32 v93, v93, v106
	v_fma_f16 v121, v123, 0xbacd, -v98
	v_add_f16_e32 v102, v102, v105
	v_mul_f16_e32 v105, 0x3bf7, v124
	v_fmamk_f16 v106, v83, 0xbacd, v103
	v_fmac_f16_e32 v98, 0xbacd, v123
	v_fma_f16 v103, v83, 0xbacd, -v103
	v_add_f16_e32 v108, v121, v108
	v_fma_f16 v121, v123, 0x2de8, -v105
	v_add_f16_e32 v106, v106, v110
	v_mul_f16_e32 v110, 0x3bf7, v85
	v_add_f16_e32 v98, v98, v101
	v_add_f16_e32 v101, v103, v107
	v_mul_f16_e32 v107, 0xb964, v124
	v_add_f16_e32 v103, v121, v112
	v_fmamk_f16 v112, v83, 0x2de8, v110
	v_fmac_f16_e32 v105, 0x2de8, v123
	v_fma_f16 v110, v83, 0x2de8, -v110
	v_mul_f16_e32 v121, 0xb964, v85
	v_fma_f16 v125, v123, 0x39e9, -v107
	v_add_f16_e32 v141, v194, v180
	v_add_f16_e32 v109, v112, v109
	;; [unrolled: 1-line block ×4, first 2 shown]
	v_fmamk_f16 v111, v83, 0x39e9, v121
	v_add_f16_e32 v112, v125, v116
	v_mul_f16_e32 v113, 0xb1e1, v124
	v_fmac_f16_e32 v107, 0x39e9, v123
	v_fma_f16 v116, v83, 0x39e9, -v121
	v_add_f16_e32 v137, v208, v141
	v_add_f16_e32 v111, v111, v118
	v_mul_f16_e32 v118, 0xb1e1, v85
	v_fma_f16 v121, v123, 0xbbdd, -v113
	v_add_f16_e32 v107, v107, v114
	v_add_f16_e32 v114, v116, v117
	v_mul_f16_e32 v116, 0x3b29, v124
	v_add_f16_e32 v127, v127, v137
	v_fmamk_f16 v117, v83, 0xbbdd, v118
	v_add_f16_e32 v119, v121, v119
	v_fmac_f16_e32 v113, 0xbbdd, v123
	v_fma_f16 v118, v83, 0xbbdd, -v118
	v_fma_f16 v121, v123, 0x3722, -v116
	v_add_f16_e32 v100, v128, v100
	v_add_f16_e32 v120, v120, v127
	v_mul_f16_e32 v85, 0x3b29, v85
	v_add_f16_e32 v113, v113, v115
	v_add_f16_e32 v115, v118, v122
	v_add_f16_e32 v99, v121, v99
	v_sub_f16_e32 v118, v44, v80
	v_sub_f16_e32 v121, v81, v82
	v_add_f16_e32 v100, v126, v100
	v_add_f16_e32 v117, v117, v120
	v_fmamk_f16 v120, v83, 0x3722, v85
	v_fmac_f16_e32 v116, 0x3722, v123
	v_add_f16_e32 v81, v81, v82
	v_mul_f16_e32 v82, 0xb836, v118
	v_fma_f16 v83, v83, 0x3722, -v85
	v_add_f16_e32 v44, v44, v80
	v_mul_f16_e32 v80, 0xb836, v121
	v_add_f16_e32 v85, v120, v100
	v_fma_f16 v100, v81, 0xbacd, -v82
	v_add_f16_e32 v104, v116, v104
	v_add_f16_e32 v83, v83, v87
	v_fmamk_f16 v87, v44, 0xbacd, v80
	v_mul_f16_e32 v116, 0x3b29, v118
	v_fma_f16 v80, v44, 0xbacd, -v80
	v_add_f16_e32 v88, v100, v88
	v_fmac_f16_e32 v82, 0xbacd, v81
	v_add_f16_e32 v87, v87, v92
	v_fma_f16 v92, v81, 0x3722, -v116
	v_mul_f16_e32 v100, 0x3b29, v121
	v_add_f16_e32 v80, v80, v84
	v_mul_f16_e32 v84, 0xbbf7, v118
	v_add_f16_e32 v82, v82, v86
	v_add_f16_e32 v86, v92, v89
	v_fmamk_f16 v89, v44, 0x3722, v100
	v_fma_f16 v92, v44, 0x3722, -v100
	v_fma_f16 v100, v81, 0x2de8, -v84
	v_mul_f16_e32 v120, 0xbbf7, v121
	v_fmac_f16_e32 v116, 0x3722, v81
	v_add_f16_e32 v89, v89, v94
	v_add_f16_e32 v92, v92, v95
	v_add_f16_e32 v94, v100, v97
	v_fmamk_f16 v95, v44, 0x2de8, v120
	v_mul_f16_e32 v97, 0x3a62, v118
	v_add_f16_e32 v90, v116, v90
	v_fmac_f16_e32 v84, 0x2de8, v81
	v_fma_f16 v100, v44, 0x2de8, -v120
	v_mul_f16_e32 v116, 0x3a62, v121
	v_add_f16_e32 v95, v95, v96
	v_fma_f16 v96, v81, 0xb8d2, -v97
	v_add_f16_e32 v84, v84, v93
	v_add_f16_e32 v93, v100, v102
	v_fmamk_f16 v100, v44, 0xb8d2, v116
	v_mul_f16_e32 v102, 0xb5c8, v118
	v_add_f16_e32 v96, v96, v108
	v_fmac_f16_e32 v97, 0xb8d2, v81
	v_fma_f16 v108, v44, 0xb8d2, -v116
	v_add_f16_e32 v100, v100, v106
	v_fma_f16 v106, v81, 0x3b76, -v102
	v_mul_f16_e32 v116, 0xb5c8, v121
	v_add_f16_e32 v97, v97, v98
	v_add_f16_e32 v98, v108, v101
	v_mul_f16_e32 v101, 0xb1e1, v118
	v_add_f16_e32 v103, v106, v103
	v_fmamk_f16 v106, v44, 0x3b76, v116
	v_fmac_f16_e32 v102, 0x3b76, v81
	v_fma_f16 v108, v44, 0x3b76, -v116
	v_fma_f16 v116, v81, 0xbbdd, -v101
	v_mul_f16_e32 v120, 0xb1e1, v121
	v_fmac_f16_e32 v101, 0xbbdd, v81
	v_add_f16_e32 v102, v102, v105
	v_add_f16_e32 v105, v108, v110
	;; [unrolled: 1-line block ×3, first 2 shown]
	v_fma_f16 v112, v44, 0xbbdd, -v120
	v_mul_f16_e32 v116, 0x3964, v121
	v_add_f16_e32 v106, v106, v109
	v_fmamk_f16 v109, v44, 0xbbdd, v120
	v_mul_f16_e32 v110, 0x3964, v118
	v_add_f16_e32 v101, v101, v107
	v_add_f16_e32 v107, v112, v114
	v_fmamk_f16 v112, v44, 0x39e9, v116
	v_mul_f16_e32 v114, 0xbbb2, v118
	v_add_f16_e32 v109, v109, v111
	v_fma_f16 v111, v81, 0x39e9, -v110
	v_fmac_f16_e32 v110, 0x39e9, v81
	v_fma_f16 v116, v44, 0x39e9, -v116
	v_add_f16_e32 v112, v112, v117
	v_fma_f16 v117, v81, 0xb461, -v114
	v_mul_f16_e32 v118, 0xbbb2, v121
	v_add_f16_e32 v110, v110, v113
	v_add_f16_e32 v113, v116, v115
	v_sub_f16_e32 v115, v41, v42
	v_add_f16_e32 v99, v117, v99
	v_add_f16_e32 v117, v36, v43
	v_sub_f16_e32 v36, v36, v43
	v_fmamk_f16 v116, v44, 0xb461, v118
	v_mul_f16_e32 v43, 0xb1e1, v115
	v_fma_f16 v44, v44, 0xb461, -v118
	v_add_f16_e32 v41, v41, v42
	v_mul_f16_e32 v42, 0xb1e1, v36
	v_fmac_f16_e32 v114, 0xb461, v81
	v_fma_f16 v81, v117, 0xbbdd, -v43
	v_add_f16_e32 v44, v44, v83
	v_fmac_f16_e32 v43, 0xbbdd, v117
	v_fmamk_f16 v83, v41, 0xbbdd, v42
	v_fma_f16 v42, v41, 0xbbdd, -v42
	v_add_f16_e32 v81, v81, v88
	v_mul_f16_e32 v88, 0x35c8, v115
	v_add_f16_e32 v104, v114, v104
	v_add_f16_e32 v83, v83, v87
	v_mul_f16_e32 v87, 0x35c8, v36
	v_add_f16_e32 v43, v43, v82
	v_fma_f16 v114, v117, 0x3b76, -v88
	v_add_f16_e32 v42, v42, v80
	v_mul_f16_e32 v80, 0xb836, v115
	v_fmamk_f16 v82, v41, 0x3b76, v87
	v_fmac_f16_e32 v88, 0x3b76, v117
	v_add_f16_e32 v86, v114, v86
	v_fma_f16 v87, v41, 0x3b76, -v87
	v_fma_f16 v114, v117, 0xbacd, -v80
	v_add_f16_e32 v82, v82, v89
	v_mul_f16_e32 v89, 0xb836, v36
	v_add_f16_e32 v88, v88, v90
	v_add_f16_e32 v87, v87, v92
	;; [unrolled: 1-line block ×3, first 2 shown]
	v_mul_f16_e32 v92, 0x3964, v115
	v_fmamk_f16 v94, v41, 0xbacd, v89
	v_fmac_f16_e32 v80, 0xbacd, v117
	v_fma_f16 v89, v41, 0xbacd, -v89
	v_mul_f16_e32 v114, 0x3964, v36
	v_add_f16_e32 v85, v116, v85
	v_fma_f16 v116, v117, 0x39e9, -v92
	v_add_f16_e32 v80, v80, v84
	v_add_f16_e32 v84, v89, v93
	v_fmamk_f16 v89, v41, 0x39e9, v114
	v_add_f16_e32 v94, v94, v95
	v_add_f16_e32 v93, v116, v96
	v_mul_f16_e32 v95, 0xba62, v115
	v_fmac_f16_e32 v92, 0x39e9, v117
	v_fma_f16 v96, v41, 0x39e9, -v114
	v_add_f16_e32 v89, v89, v100
	v_mul_f16_e32 v100, 0xba62, v36
	v_fma_f16 v114, v117, 0xb8d2, -v95
	v_add_f16_e32 v92, v92, v97
	v_add_f16_e32 v96, v96, v98
	v_mul_f16_e32 v97, 0x3b29, v115
	v_fmamk_f16 v98, v41, 0xb8d2, v100
	v_add_f16_e32 v103, v114, v103
	v_fmac_f16_e32 v95, 0xb8d2, v117
	v_fma_f16 v100, v41, 0xb8d2, -v100
	v_fma_f16 v114, v117, 0x3722, -v97
	v_add_f16_e32 v98, v98, v106
	v_mul_f16_e32 v106, 0x3b29, v36
	v_add_f16_e32 v95, v95, v102
	v_add_f16_e32 v100, v100, v105
	;; [unrolled: 1-line block ×3, first 2 shown]
	v_mul_f16_e32 v105, 0xbbb2, v115
	v_fmamk_f16 v108, v41, 0x3722, v106
	v_fmac_f16_e32 v97, 0x3722, v117
	v_mul_f16_e32 v114, 0xbbb2, v36
	v_add_f16_e32 v111, v111, v119
	v_fma_f16 v106, v41, 0x3722, -v106
	v_fma_f16 v116, v117, 0xb461, -v105
	v_add_f16_e32 v108, v108, v109
	v_add_f16_e32 v97, v97, v101
	v_fmamk_f16 v101, v41, 0xb461, v114
	v_mul_f16_e32 v109, 0x3bf7, v115
	v_mul_f16_e32 v36, 0x3bf7, v36
	v_add_f16_e32 v106, v106, v107
	v_add_f16_e32 v107, v116, v111
	;; [unrolled: 1-line block ×3, first 2 shown]
	v_fma_f16 v111, v41, 0xb461, -v114
	v_fma_f16 v112, v117, 0x2de8, -v109
	v_fmamk_f16 v114, v41, 0x2de8, v36
	v_fmac_f16_e32 v109, 0x2de8, v117
	v_fma_f16 v36, v41, 0x2de8, -v36
	v_fmac_f16_e32 v105, 0xb461, v117
	v_add_f16_e32 v99, v112, v99
	v_add_f16_e32 v85, v114, v85
	;; [unrolled: 1-line block ×3, first 2 shown]
	v_pack_b32_f16 v35, v35, v91
	v_pack_b32_f16 v41, v81, v83
	v_add_f16_e32 v36, v36, v44
	v_add_f16_e32 v105, v105, v110
	;; [unrolled: 1-line block ×3, first 2 shown]
	v_pack_b32_f16 v81, v86, v82
	v_pack_b32_f16 v82, v90, v94
	;; [unrolled: 1-line block ×6, first 2 shown]
	ds_write2_b32 v47, v35, v41 offset1:85
	ds_write2_b32 v47, v81, v82 offset0:170 offset1:255
	ds_write2_b32 v77, v83, v86 offset0:84 offset1:169
	;; [unrolled: 1-line block ×3, first 2 shown]
	v_pack_b32_f16 v35, v99, v85
	v_pack_b32_f16 v36, v104, v36
	;; [unrolled: 1-line block ×9, first 2 shown]
	ds_write2_b32 v46, v35, v36 offset0:168 offset1:253
	ds_write2_b32 v39, v41, v44 offset0:82 offset1:167
	;; [unrolled: 1-line block ×4, first 2 shown]
	ds_write_b32 v47, v42 offset:5440
	v_add_co_u32 v35, s0, 0x1694, v37
	v_add_co_ci_u32_e64 v36, s0, 0, v38, s0
	s_waitcnt lgkmcnt(0)
	s_barrier
	buffer_gl0_inv
	s_clause 0x5
	global_load_dword v41, v[33:34], off offset:1684
	global_load_dword v42, v[35:36], off offset:340
	;; [unrolled: 1-line block ×6, first 2 shown]
	v_add_co_u32 v33, s0, 0x1800, v37
	v_add_co_ci_u32_e64 v34, s0, 0, v38, s0
	s_clause 0x1
	global_load_dword v82, v[35:36], off offset:2040
	global_load_dword v83, v[33:34], off offset:2016
	v_add_co_u32 v33, s0, 0x2000, v37
	v_add_co_ci_u32_e64 v34, s0, 0, v38, s0
	s_clause 0x4
	global_load_dword v84, v[33:34], off offset:308
	global_load_dword v85, v[33:34], off offset:648
	global_load_dword v86, v[33:34], off offset:988
	global_load_dword v87, v[33:34], off offset:1328
	global_load_dword v88, v[33:34], off offset:1668
	v_add_co_u32 v35, s0, 0x2800, v37
	v_add_co_ci_u32_e64 v36, s0, 0, v38, s0
	s_clause 0x3
	global_load_dword v89, v[33:34], off offset:2008
	global_load_dword v90, v[35:36], off offset:300
	;; [unrolled: 1-line block ×4, first 2 shown]
	ds_read2_b32 v[33:34], v47 offset1:85
	v_mov_b32_e32 v103, 0xb964
	v_mov_b32_e32 v112, 0xbb29
	v_mov_b32_e32 v100, 0xbbf7
	v_mov_b32_e32 v101, 0x2de8
	v_mov_b32_e32 v97, 0xba62
	v_mov_b32_e32 v134, 0x3836
	v_mov_b32_e32 v139, 0x31e1
	s_waitcnt lgkmcnt(0)
	v_lshrrev_b32_e32 v35, 16, v33
	v_lshrrev_b32_e32 v36, 16, v34
	s_waitcnt vmcnt(16)
	v_mul_f16_sdwa v37, v35, v41 dst_sel:DWORD dst_unused:UNUSED_PAD src0_sel:DWORD src1_sel:WORD_1
	v_mul_f16_sdwa v38, v33, v41 dst_sel:DWORD dst_unused:UNUSED_PAD src0_sel:DWORD src1_sel:WORD_1
	s_waitcnt vmcnt(15)
	v_mul_f16_sdwa v93, v36, v42 dst_sel:DWORD dst_unused:UNUSED_PAD src0_sel:DWORD src1_sel:WORD_1
	v_mul_f16_sdwa v94, v34, v42 dst_sel:DWORD dst_unused:UNUSED_PAD src0_sel:DWORD src1_sel:WORD_1
	v_fma_f16 v33, v33, v41, -v37
	v_fmac_f16_e32 v38, v35, v41
	v_fma_f16 v34, v34, v42, -v93
	v_fmac_f16_e32 v94, v36, v42
	v_pack_b32_f16 v33, v33, v38
	v_pack_b32_f16 v34, v34, v94
	ds_write2_b32 v47, v33, v34 offset1:85
	ds_read2_b32 v[33:34], v47 offset0:170 offset1:255
	ds_read2_b32 v[35:36], v77 offset0:84 offset1:169
	s_waitcnt lgkmcnt(1)
	v_lshrrev_b32_e32 v41, 16, v33
	s_waitcnt vmcnt(14)
	v_mul_f16_sdwa v42, v33, v43 dst_sel:DWORD dst_unused:UNUSED_PAD src0_sel:DWORD src1_sel:WORD_1
	v_lshrrev_b32_e32 v93, 16, v34
	s_waitcnt lgkmcnt(0)
	v_lshrrev_b32_e32 v94, 16, v35
	v_lshrrev_b32_e32 v95, 16, v36
	v_mul_f16_sdwa v37, v41, v43 dst_sel:DWORD dst_unused:UNUSED_PAD src0_sel:DWORD src1_sel:WORD_1
	v_fmac_f16_e32 v42, v41, v43
	s_waitcnt vmcnt(13)
	v_mul_f16_sdwa v41, v93, v44 dst_sel:DWORD dst_unused:UNUSED_PAD src0_sel:DWORD src1_sel:WORD_1
	v_fma_f16 v33, v33, v43, -v37
	ds_read2_b32 v[37:38], v40 offset0:126 offset1:211
	v_mul_f16_sdwa v43, v34, v44 dst_sel:DWORD dst_unused:UNUSED_PAD src0_sel:DWORD src1_sel:WORD_1
	v_fma_f16 v41, v34, v44, -v41
	v_pack_b32_f16 v42, v33, v42
	ds_read2_b32 v[33:34], v46 offset0:168 offset1:253
	v_fmac_f16_e32 v43, v93, v44
	s_waitcnt vmcnt(12)
	v_mul_f16_sdwa v44, v94, v80 dst_sel:DWORD dst_unused:UNUSED_PAD src0_sel:DWORD src1_sel:WORD_1
	v_mul_f16_sdwa v93, v35, v80 dst_sel:DWORD dst_unused:UNUSED_PAD src0_sel:DWORD src1_sel:WORD_1
	v_pack_b32_f16 v41, v41, v43
	v_fma_f16 v35, v35, v80, -v44
	v_fmac_f16_e32 v93, v94, v80
	s_waitcnt vmcnt(11)
	v_mul_f16_sdwa v43, v95, v81 dst_sel:DWORD dst_unused:UNUSED_PAD src0_sel:DWORD src1_sel:WORD_1
	ds_write2_b32 v47, v42, v41 offset0:170 offset1:255
	v_mul_f16_sdwa v41, v36, v81 dst_sel:DWORD dst_unused:UNUSED_PAD src0_sel:DWORD src1_sel:WORD_1
	v_pack_b32_f16 v44, v35, v93
	v_fma_f16 v43, v36, v81, -v43
	s_waitcnt lgkmcnt(2)
	v_lshrrev_b32_e32 v42, 16, v37
	v_lshrrev_b32_e32 v80, 16, v38
	ds_read2_b32 v[35:36], v39 offset0:82 offset1:167
	v_fmac_f16_e32 v41, v95, v81
	s_waitcnt vmcnt(10)
	v_mul_f16_sdwa v93, v37, v82 dst_sel:DWORD dst_unused:UNUSED_PAD src0_sel:DWORD src1_sel:WORD_1
	v_mul_f16_sdwa v81, v42, v82 dst_sel:DWORD dst_unused:UNUSED_PAD src0_sel:DWORD src1_sel:WORD_1
	s_waitcnt vmcnt(9)
	v_mul_f16_sdwa v94, v80, v83 dst_sel:DWORD dst_unused:UNUSED_PAD src0_sel:DWORD src1_sel:WORD_1
	v_mul_f16_sdwa v95, v38, v83 dst_sel:DWORD dst_unused:UNUSED_PAD src0_sel:DWORD src1_sel:WORD_1
	s_waitcnt lgkmcnt(2)
	v_lshrrev_b32_e32 v96, 16, v33
	v_fmac_f16_e32 v93, v42, v82
	v_fma_f16 v37, v37, v82, -v81
	v_fma_f16 v38, v38, v83, -v94
	v_fmac_f16_e32 v95, v80, v83
	v_pack_b32_f16 v41, v43, v41
	s_waitcnt vmcnt(8)
	v_mul_f16_sdwa v42, v96, v84 dst_sel:DWORD dst_unused:UNUSED_PAD src0_sel:DWORD src1_sel:WORD_1
	v_pack_b32_f16 v43, v37, v93
	v_mul_f16_sdwa v80, v33, v84 dst_sel:DWORD dst_unused:UNUSED_PAD src0_sel:DWORD src1_sel:WORD_1
	v_pack_b32_f16 v81, v38, v95
	ds_read2_b32 v[37:38], v78 offset0:124 offset1:209
	v_lshrrev_b32_e32 v82, 16, v34
	ds_write2_b32 v77, v44, v41 offset0:84 offset1:169
	ds_write2_b32 v40, v43, v81 offset0:126 offset1:211
	v_fma_f16 v33, v33, v84, -v42
	v_fmac_f16_e32 v80, v96, v84
	s_waitcnt lgkmcnt(3)
	v_lshrrev_b32_e32 v43, 16, v35
	s_waitcnt vmcnt(7)
	v_mul_f16_sdwa v44, v82, v85 dst_sel:DWORD dst_unused:UNUSED_PAD src0_sel:DWORD src1_sel:WORD_1
	ds_read2_b32 v[41:42], v79 offset0:166 offset1:251
	v_lshrrev_b32_e32 v81, 16, v36
	v_pack_b32_f16 v33, v33, v80
	v_mul_f16_sdwa v80, v34, v85 dst_sel:DWORD dst_unused:UNUSED_PAD src0_sel:DWORD src1_sel:WORD_1
	s_waitcnt vmcnt(6)
	v_mul_f16_sdwa v83, v43, v86 dst_sel:DWORD dst_unused:UNUSED_PAD src0_sel:DWORD src1_sel:WORD_1
	v_fma_f16 v34, v34, v85, -v44
	v_mul_f16_sdwa v44, v35, v86 dst_sel:DWORD dst_unused:UNUSED_PAD src0_sel:DWORD src1_sel:WORD_1
	ds_read_b32 v84, v47 offset:5440
	v_fmac_f16_e32 v80, v82, v85
	s_waitcnt vmcnt(5)
	v_mul_f16_sdwa v82, v81, v87 dst_sel:DWORD dst_unused:UNUSED_PAD src0_sel:DWORD src1_sel:WORD_1
	v_fma_f16 v35, v35, v86, -v83
	v_mul_f16_sdwa v83, v36, v87 dst_sel:DWORD dst_unused:UNUSED_PAD src0_sel:DWORD src1_sel:WORD_1
	v_fmac_f16_e32 v44, v43, v86
	s_waitcnt lgkmcnt(4)
	v_lshrrev_b32_e32 v43, 16, v37
	v_fma_f16 v36, v36, v87, -v82
	v_pack_b32_f16 v34, v34, v80
	v_fmac_f16_e32 v83, v81, v87
	v_pack_b32_f16 v35, v35, v44
	v_lshrrev_b32_e32 v44, 16, v38
	s_waitcnt vmcnt(4)
	v_mul_f16_sdwa v80, v43, v88 dst_sel:DWORD dst_unused:UNUSED_PAD src0_sel:DWORD src1_sel:WORD_1
	v_mul_f16_sdwa v81, v37, v88 dst_sel:DWORD dst_unused:UNUSED_PAD src0_sel:DWORD src1_sel:WORD_1
	v_pack_b32_f16 v36, v36, v83
	s_waitcnt lgkmcnt(1)
	v_lshrrev_b32_e32 v82, 16, v41
	s_waitcnt vmcnt(3)
	v_mul_f16_sdwa v83, v44, v89 dst_sel:DWORD dst_unused:UNUSED_PAD src0_sel:DWORD src1_sel:WORD_1
	v_fma_f16 v37, v37, v88, -v80
	v_mul_f16_sdwa v80, v38, v89 dst_sel:DWORD dst_unused:UNUSED_PAD src0_sel:DWORD src1_sel:WORD_1
	v_fmac_f16_e32 v81, v43, v88
	s_waitcnt vmcnt(2)
	v_mul_f16_sdwa v43, v82, v90 dst_sel:DWORD dst_unused:UNUSED_PAD src0_sel:DWORD src1_sel:WORD_1
	v_fma_f16 v38, v38, v89, -v83
	v_lshrrev_b32_e32 v83, 16, v42
	v_fmac_f16_e32 v80, v44, v89
	s_waitcnt lgkmcnt(0)
	v_lshrrev_b32_e32 v44, 16, v84
	v_fma_f16 v43, v41, v90, -v43
	v_mul_f16_sdwa v41, v41, v90 dst_sel:DWORD dst_unused:UNUSED_PAD src0_sel:DWORD src1_sel:WORD_1
	s_waitcnt vmcnt(1)
	v_mul_f16_sdwa v85, v83, v91 dst_sel:DWORD dst_unused:UNUSED_PAD src0_sel:DWORD src1_sel:WORD_1
	v_mul_f16_sdwa v86, v42, v91 dst_sel:DWORD dst_unused:UNUSED_PAD src0_sel:DWORD src1_sel:WORD_1
	s_waitcnt vmcnt(0)
	v_mul_f16_sdwa v87, v44, v92 dst_sel:DWORD dst_unused:UNUSED_PAD src0_sel:DWORD src1_sel:WORD_1
	v_mul_f16_sdwa v88, v84, v92 dst_sel:DWORD dst_unused:UNUSED_PAD src0_sel:DWORD src1_sel:WORD_1
	v_fmac_f16_e32 v41, v82, v90
	v_fma_f16 v42, v42, v91, -v85
	v_fmac_f16_e32 v86, v83, v91
	v_fma_f16 v82, v84, v92, -v87
	v_fmac_f16_e32 v88, v44, v92
	v_pack_b32_f16 v37, v37, v81
	v_pack_b32_f16 v38, v38, v80
	;; [unrolled: 1-line block ×5, first 2 shown]
	ds_write2_b32 v46, v33, v34 offset0:168 offset1:253
	ds_write2_b32 v39, v35, v36 offset0:82 offset1:167
	;; [unrolled: 1-line block ×4, first 2 shown]
	ds_write_b32 v47, v43 offset:5440
	s_waitcnt lgkmcnt(0)
	s_barrier
	buffer_gl0_inv
	ds_read2_b32 v[33:34], v47 offset1:85
	ds_read2_b32 v[95:96], v47 offset0:170 offset1:255
	ds_read2_b32 v[41:42], v77 offset0:84 offset1:169
	;; [unrolled: 1-line block ×3, first 2 shown]
	ds_read_b32 v83, v47 offset:5440
	ds_read2_b32 v[104:105], v79 offset0:166 offset1:251
	v_mov_b32_e32 v88, 0x39e9
	v_mov_b32_e32 v91, 0xb461
	;; [unrolled: 1-line block ×4, first 2 shown]
	s_waitcnt lgkmcnt(5)
	v_pk_add_f16 v35, v33, v34
	s_waitcnt lgkmcnt(1)
	v_pk_add_f16 v81, v34, v83 neg_lo:[0,1] neg_hi:[0,1]
	v_pk_add_f16 v35, v35, v95
	v_pk_add_f16 v82, v83, v34
	v_pk_mul_f16 v84, 0xb5c8, v81 op_sel_hi:[0,1]
	v_pk_add_f16 v40, v35, v96
	ds_read2_b32 v[35:36], v46 offset0:168 offset1:253
	v_mul_f16_sdwa v86, v82, v88 dst_sel:DWORD dst_unused:UNUSED_PAD src0_sel:WORD_1 src1_sel:DWORD
	v_mul_f16_sdwa v118, v82, v94 dst_sel:DWORD dst_unused:UNUSED_PAD src0_sel:WORD_1 src1_sel:DWORD
	v_pk_fma_f16 v34, 0x3b76, v82, v84 op_sel:[0,0,1] op_sel_hi:[0,1,0]
	v_pk_add_f16 v40, v40, v41
	v_mul_f16_sdwa v124, v81, v93 dst_sel:DWORD dst_unused:UNUSED_PAD src0_sel:WORD_1 src1_sel:DWORD
	v_fmamk_f16 v90, v81, 0x3964, v86
	v_fmac_f16_e32 v86, 0xb964, v81
	v_fmamk_f16 v92, v81, 0x3a62, v118
	v_pk_add_f16 v43, v40, v42
	ds_read2_b32 v[39:40], v39 offset0:82 offset1:167
	v_add_f16_sdwa v102, v33, v90 dst_sel:DWORD dst_unused:UNUSED_PAD src0_sel:WORD_1 src1_sel:DWORD
	v_add_f16_sdwa v107, v33, v86 dst_sel:DWORD dst_unused:UNUSED_PAD src0_sel:WORD_1 src1_sel:DWORD
	v_add_f16_sdwa v123, v33, v92 dst_sel:DWORD dst_unused:UNUSED_PAD src0_sel:WORD_1 src1_sel:DWORD
	v_pk_add_f16 v43, v43, v37
	s_waitcnt lgkmcnt(2)
	v_pk_add_f16 v92, v105, v95
	v_fmac_f16_e32 v118, 0xba62, v81
	v_pk_add_f16 v80, v43, v38
	ds_read2_b32 v[43:44], v78 offset0:124 offset1:209
	v_add_f16_sdwa v118, v33, v118 dst_sel:DWORD dst_unused:UNUSED_PAD src0_sel:WORD_1 src1_sel:DWORD
	s_waitcnt lgkmcnt(0)
	s_barrier
	v_pk_add_f16 v80, v80, v35
	buffer_gl0_inv
	v_pk_add_f16 v80, v80, v36
	v_pk_add_f16 v80, v80, v39
	;; [unrolled: 1-line block ×6, first 2 shown]
	v_pk_fma_f16 v80, 0x3b76, v82, v84 op_sel:[0,0,1] op_sel_hi:[0,1,0] neg_lo:[0,0,1] neg_hi:[0,0,1]
	v_mul_f16_sdwa v84, v81, v103 dst_sel:DWORD dst_unused:UNUSED_PAD src0_sel:WORD_1 src1_sel:DWORD
	v_pk_add_f16 v85, v85, v105
	v_bfi_b32 v87, 0xffff, v34, v80
	v_fmamk_f16 v89, v82, 0x39e9, v84
	v_fma_f16 v84, v82, 0x39e9, -v84
	v_bfi_b32 v34, 0xffff, v80, v34
	v_pk_add_f16 v83, v85, v83
	v_pk_add_f16 v98, v33, v87
	v_mov_b32_e32 v87, 0x3722
	v_mul_f16_sdwa v85, v81, v112 dst_sel:DWORD dst_unused:UNUSED_PAD src0_sel:WORD_1 src1_sel:DWORD
	v_add_f16_e32 v99, v33, v89
	v_add_f16_e32 v106, v33, v84
	v_mul_f16_sdwa v84, v81, v100 dst_sel:DWORD dst_unused:UNUSED_PAD src0_sel:WORD_1 src1_sel:DWORD
	v_mul_f16_sdwa v90, v82, v87 dst_sel:DWORD dst_unused:UNUSED_PAD src0_sel:WORD_1 src1_sel:DWORD
	v_fmamk_f16 v89, v82, 0x3722, v85
	v_fma_f16 v85, v82, 0x3722, -v85
	v_fmamk_f16 v86, v81, 0x3b29, v90
	v_fmac_f16_e32 v90, 0xbb29, v81
	v_add_f16_e32 v108, v33, v89
	v_fmamk_f16 v89, v82, 0x2de8, v84
	v_add_f16_e32 v110, v33, v85
	v_add_f16_sdwa v109, v33, v86 dst_sel:DWORD dst_unused:UNUSED_PAD src0_sel:WORD_1 src1_sel:DWORD
	v_mul_f16_sdwa v86, v82, v101 dst_sel:DWORD dst_unused:UNUSED_PAD src0_sel:WORD_1 src1_sel:DWORD
	v_add_f16_sdwa v111, v33, v90 dst_sel:DWORD dst_unused:UNUSED_PAD src0_sel:WORD_1 src1_sel:DWORD
	v_mov_b32_e32 v90, 0xbbb2
	v_add_f16_e32 v113, v33, v89
	v_fma_f16 v84, v82, 0x2de8, -v84
	v_fmamk_f16 v85, v81, 0x3bf7, v86
	v_fmac_f16_e32 v86, 0xbbf7, v81
	v_mul_f16_sdwa v89, v81, v90 dst_sel:DWORD dst_unused:UNUSED_PAD src0_sel:WORD_1 src1_sel:DWORD
	v_add_f16_e32 v115, v33, v84
	v_add_f16_sdwa v114, v33, v85 dst_sel:DWORD dst_unused:UNUSED_PAD src0_sel:WORD_1 src1_sel:DWORD
	v_mul_f16_sdwa v84, v82, v91 dst_sel:DWORD dst_unused:UNUSED_PAD src0_sel:WORD_1 src1_sel:DWORD
	v_fmamk_f16 v85, v82, 0xb461, v89
	v_fma_f16 v89, v82, 0xb461, -v89
	v_add_f16_sdwa v116, v33, v86 dst_sel:DWORD dst_unused:UNUSED_PAD src0_sel:WORD_1 src1_sel:DWORD
	v_fmamk_f16 v86, v81, 0x3bb2, v84
	v_add_f16_e32 v117, v33, v85
	v_mul_f16_sdwa v85, v81, v97 dst_sel:DWORD dst_unused:UNUSED_PAD src0_sel:WORD_1 src1_sel:DWORD
	v_add_f16_e32 v120, v33, v89
	v_fmac_f16_e32 v84, 0xbbb2, v81
	v_add_f16_sdwa v119, v33, v86 dst_sel:DWORD dst_unused:UNUSED_PAD src0_sel:WORD_1 src1_sel:DWORD
	v_mov_b32_e32 v86, 0xbacd
	v_fmamk_f16 v89, v82, 0xb8d2, v85
	v_add_f16_sdwa v121, v33, v84 dst_sel:DWORD dst_unused:UNUSED_PAD src0_sel:WORD_1 src1_sel:DWORD
	v_fma_f16 v84, v82, 0xb8d2, -v85
	v_fmamk_f16 v85, v82, 0xbacd, v124
	v_add_f16_e32 v122, v33, v89
	v_pk_add_f16 v89, v95, v105 neg_lo:[0,1] neg_hi:[0,1]
	v_fma_f16 v105, v82, 0xbacd, -v124
	v_add_f16_e32 v127, v33, v84
	v_add_f16_e32 v128, v33, v85
	v_mul_f16_sdwa v124, v92, v101 dst_sel:DWORD dst_unused:UNUSED_PAD src0_sel:WORD_1 src1_sel:DWORD
	v_pk_mul_f16 v95, 0xb964, v89 op_sel_hi:[0,1]
	v_add_f16_e32 v131, v33, v105
	v_mul_f16_sdwa v125, v82, v86 dst_sel:DWORD dst_unused:UNUSED_PAD src0_sel:WORD_1 src1_sel:DWORD
	v_pk_mul_f16 v82, 0xbbdd, v82 op_sel_hi:[0,1]
	v_fmamk_f16 v105, v89, 0x3bf7, v124
	v_pk_fma_f16 v84, 0x39e9, v92, v95 op_sel:[0,0,1] op_sel_hi:[0,1,0]
	v_pk_fma_f16 v85, 0x39e9, v92, v95 op_sel:[0,0,1] op_sel_hi:[0,1,0] neg_lo:[0,0,1] neg_hi:[0,0,1]
	v_mul_f16_sdwa v95, v89, v100 dst_sel:DWORD dst_unused:UNUSED_PAD src0_sel:WORD_1 src1_sel:DWORD
	v_fmac_f16_e32 v124, 0xbbf7, v89
	v_add_f16_e32 v132, v105, v102
	v_mov_b32_e32 v105, 0xb1e1
	v_bfi_b32 v129, 0xffff, v84, v85
	v_fmamk_f16 v130, v92, 0x2de8, v95
	v_fma_f16 v95, v92, 0x2de8, -v95
	v_add_f16_e32 v124, v124, v107
	v_mov_b32_e32 v107, 0xbbdd
	v_pk_add_f16 v129, v129, v98
	v_add_f16_e32 v130, v130, v99
	v_mul_f16_sdwa v99, v92, v94 dst_sel:DWORD dst_unused:UNUSED_PAD src0_sel:WORD_1 src1_sel:DWORD
	v_mul_f16_sdwa v98, v89, v97 dst_sel:DWORD dst_unused:UNUSED_PAD src0_sel:WORD_1 src1_sel:DWORD
	v_add_f16_e32 v106, v95, v106
	v_fmamk_f16 v126, v81, 0x3836, v125
	v_fmac_f16_e32 v125, 0xb836, v81
	v_fmamk_f16 v102, v89, 0x3a62, v99
	v_fmamk_f16 v95, v92, 0xb8d2, v98
	v_fma_f16 v98, v92, 0xb8d2, -v98
	v_fmac_f16_e32 v99, 0xba62, v89
	v_add_f16_sdwa v126, v33, v126 dst_sel:DWORD dst_unused:UNUSED_PAD src0_sel:WORD_1 src1_sel:DWORD
	v_add_f16_e32 v109, v102, v109
	v_mul_f16_sdwa v102, v92, v107 dst_sel:DWORD dst_unused:UNUSED_PAD src0_sel:WORD_1 src1_sel:DWORD
	v_add_f16_e32 v108, v95, v108
	v_mul_f16_sdwa v95, v89, v105 dst_sel:DWORD dst_unused:UNUSED_PAD src0_sel:WORD_1 src1_sel:DWORD
	v_add_f16_e32 v110, v98, v110
	v_add_f16_e32 v111, v99, v111
	v_fmamk_f16 v98, v89, 0x31e1, v102
	v_mul_f16_sdwa v99, v89, v134 dst_sel:DWORD dst_unused:UNUSED_PAD src0_sel:WORD_1 src1_sel:DWORD
	v_fmamk_f16 v133, v92, 0xbbdd, v95
	v_fma_f16 v95, v92, 0xbbdd, -v95
	v_fmac_f16_e32 v102, 0xb1e1, v89
	v_add_f16_e32 v114, v98, v114
	v_mul_f16_sdwa v98, v92, v86 dst_sel:DWORD dst_unused:UNUSED_PAD src0_sel:WORD_1 src1_sel:DWORD
	v_add_f16_e32 v113, v133, v113
	v_add_f16_e32 v115, v95, v115
	v_fmamk_f16 v95, v92, 0xbacd, v99
	v_mov_b32_e32 v133, 0x3bb2
	v_fmamk_f16 v135, v89, 0xb836, v98
	v_add_f16_e32 v116, v102, v116
	v_fma_f16 v99, v92, 0xbacd, -v99
	v_add_f16_e32 v117, v95, v117
	v_mul_f16_sdwa v95, v89, v133 dst_sel:DWORD dst_unused:UNUSED_PAD src0_sel:WORD_1 src1_sel:DWORD
	v_add_f16_e32 v119, v135, v119
	v_mul_f16_sdwa v135, v92, v91 dst_sel:DWORD dst_unused:UNUSED_PAD src0_sel:WORD_1 src1_sel:DWORD
	v_fmac_f16_e32 v98, 0x3836, v89
	v_mov_b32_e32 v102, 0x3b29
	v_add_f16_e32 v120, v99, v120
	v_fmamk_f16 v99, v92, 0xb461, v95
	v_fmamk_f16 v136, v89, 0xbbb2, v135
	v_fma_f16 v95, v92, 0xb461, -v95
	v_add_f16_e32 v121, v98, v121
	v_mul_f16_sdwa v137, v89, v102 dst_sel:DWORD dst_unused:UNUSED_PAD src0_sel:WORD_1 src1_sel:DWORD
	v_pk_add_f16 v98, v96, v104 neg_lo:[0,1] neg_hi:[0,1]
	v_add_f16_e32 v122, v99, v122
	v_add_f16_e32 v123, v136, v123
	;; [unrolled: 1-line block ×3, first 2 shown]
	v_fmac_f16_e32 v135, 0x3bb2, v89
	v_fmamk_f16 v95, v92, 0x3722, v137
	v_mul_f16_sdwa v136, v92, v87 dst_sel:DWORD dst_unused:UNUSED_PAD src0_sel:WORD_1 src1_sel:DWORD
	v_pk_add_f16 v99, v104, v96
	v_pk_mul_f16 v96, 0xbb29, v98 op_sel_hi:[0,1]
	v_add_f16_e32 v118, v135, v118
	v_add_f16_e32 v128, v95, v128
	v_fmamk_f16 v104, v89, 0xbb29, v136
	v_fma_f16 v135, v92, 0x3722, -v137
	v_pk_fma_f16 v95, 0x3722, v99, v96 op_sel:[0,0,1] op_sel_hi:[0,1,0]
	v_pk_fma_f16 v96, 0x3722, v99, v96 op_sel:[0,0,1] op_sel_hi:[0,1,0] neg_lo:[0,0,1] neg_hi:[0,0,1]
	v_mul_f16_sdwa v137, v98, v97 dst_sel:DWORD dst_unused:UNUSED_PAD src0_sel:WORD_1 src1_sel:DWORD
	v_add_f16_e32 v126, v104, v126
	v_add_f16_e32 v131, v135, v131
	v_mul_f16_sdwa v138, v99, v94 dst_sel:DWORD dst_unused:UNUSED_PAD src0_sel:WORD_1 src1_sel:DWORD
	v_bfi_b32 v104, 0xffff, v95, v96
	v_fmamk_f16 v135, v99, 0xb8d2, v137
	v_add_f16_sdwa v125, v33, v125 dst_sel:DWORD dst_unused:UNUSED_PAD src0_sel:WORD_1 src1_sel:DWORD
	v_fmac_f16_e32 v136, 0x3b29, v89
	v_fma_f16 v137, v99, 0xb8d2, -v137
	v_pk_add_f16 v129, v104, v129
	v_add_f16_e32 v130, v135, v130
	v_fmamk_f16 v104, v98, 0x3a62, v138
	v_mul_f16_sdwa v135, v98, v139 dst_sel:DWORD dst_unused:UNUSED_PAD src0_sel:WORD_1 src1_sel:DWORD
	v_add_f16_e32 v125, v136, v125
	v_mul_f16_sdwa v136, v99, v107 dst_sel:DWORD dst_unused:UNUSED_PAD src0_sel:WORD_1 src1_sel:DWORD
	v_fmac_f16_e32 v138, 0xba62, v98
	v_add_f16_e32 v132, v104, v132
	v_fmamk_f16 v104, v99, 0xbbdd, v135
	v_add_f16_e32 v137, v137, v106
	v_fmamk_f16 v139, v98, 0xb1e1, v136
	v_add_f16_e32 v124, v138, v124
	v_fma_f16 v106, v99, 0xbbdd, -v135
	v_add_f16_e32 v135, v104, v108
	v_mul_f16_sdwa v104, v98, v133 dst_sel:DWORD dst_unused:UNUSED_PAD src0_sel:WORD_1 src1_sel:DWORD
	v_mul_f16_sdwa v138, v99, v91 dst_sel:DWORD dst_unused:UNUSED_PAD src0_sel:WORD_1 src1_sel:DWORD
	v_mov_b32_e32 v108, 0x3964
	v_add_f16_e32 v109, v139, v109
	v_add_f16_e32 v110, v106, v110
	v_fmamk_f16 v106, v99, 0xb461, v104
	v_fmamk_f16 v139, v98, 0xbbb2, v138
	v_fma_f16 v104, v99, 0xb461, -v104
	v_mul_f16_sdwa v140, v98, v108 dst_sel:DWORD dst_unused:UNUSED_PAD src0_sel:WORD_1 src1_sel:DWORD
	v_fmac_f16_e32 v136, 0x31e1, v98
	v_add_f16_e32 v113, v106, v113
	v_add_f16_e32 v114, v139, v114
	;; [unrolled: 1-line block ×3, first 2 shown]
	v_fmamk_f16 v104, v99, 0x39e9, v140
	v_mov_b32_e32 v139, 0xb5c8
	v_add_f16_e32 v136, v136, v111
	v_fmac_f16_e32 v138, 0x3bb2, v98
	v_mov_b32_e32 v111, 0x3b76
	v_add_f16_e32 v117, v104, v117
	v_mul_f16_sdwa v104, v98, v139 dst_sel:DWORD dst_unused:UNUSED_PAD src0_sel:WORD_1 src1_sel:DWORD
	v_mul_f16_sdwa v106, v99, v88 dst_sel:DWORD dst_unused:UNUSED_PAD src0_sel:WORD_1 src1_sel:DWORD
	v_add_f16_e32 v116, v138, v116
	v_mul_f16_sdwa v138, v99, v111 dst_sel:DWORD dst_unused:UNUSED_PAD src0_sel:WORD_1 src1_sel:DWORD
	v_fma_f16 v140, v99, 0x39e9, -v140
	v_fmamk_f16 v142, v99, 0x3b76, v104
	v_fmamk_f16 v141, v98, 0xb964, v106
	v_fmac_f16_e32 v106, 0x3964, v98
	v_fmamk_f16 v143, v98, 0x35c8, v138
	v_add_f16_e32 v120, v140, v120
	v_add_f16_e32 v122, v142, v122
	v_fma_f16 v142, v99, 0x3b76, -v104
	v_pk_add_f16 v104, v41, v44 neg_lo:[0,1] neg_hi:[0,1]
	v_add_f16_e32 v121, v106, v121
	v_mul_f16_sdwa v140, v98, v100 dst_sel:DWORD dst_unused:UNUSED_PAD src0_sel:WORD_1 src1_sel:DWORD
	v_pk_add_f16 v106, v44, v41
	v_add_f16_e32 v119, v141, v119
	v_pk_mul_f16 v44, 0xbbf7, v104 op_sel_hi:[0,1]
	v_add_f16_e32 v123, v143, v123
	v_mul_f16_sdwa v141, v99, v101 dst_sel:DWORD dst_unused:UNUSED_PAD src0_sel:WORD_1 src1_sel:DWORD
	v_fmac_f16_e32 v138, 0xb5c8, v98
	v_fmamk_f16 v143, v99, 0x2de8, v140
	v_pk_fma_f16 v41, 0x2de8, v106, v44 op_sel:[0,0,1] op_sel_hi:[0,1,0]
	v_pk_fma_f16 v44, 0x2de8, v106, v44 op_sel:[0,0,1] op_sel_hi:[0,1,0] neg_lo:[0,0,1] neg_hi:[0,0,1]
	v_fmamk_f16 v144, v98, 0x3bf7, v141
	v_add_f16_e32 v127, v142, v127
	v_add_f16_e32 v118, v138, v118
	;; [unrolled: 1-line block ×3, first 2 shown]
	v_mul_f16_sdwa v138, v104, v105 dst_sel:DWORD dst_unused:UNUSED_PAD src0_sel:WORD_1 src1_sel:DWORD
	v_mul_f16_sdwa v142, v106, v107 dst_sel:DWORD dst_unused:UNUSED_PAD src0_sel:WORD_1 src1_sel:DWORD
	v_fma_f16 v140, v99, 0x2de8, -v140
	v_fmac_f16_e32 v141, 0xbbf7, v98
	v_bfi_b32 v143, 0xffff, v41, v44
	v_add_f16_e32 v126, v144, v126
	v_fmamk_f16 v144, v106, 0xbbdd, v138
	v_fmamk_f16 v145, v104, 0x31e1, v142
	v_add_f16_e32 v131, v140, v131
	v_add_f16_e32 v125, v141, v125
	v_pk_add_f16 v129, v143, v129
	v_mul_f16_sdwa v140, v104, v133 dst_sel:DWORD dst_unused:UNUSED_PAD src0_sel:WORD_1 src1_sel:DWORD
	v_fma_f16 v138, v106, 0xbbdd, -v138
	v_fmac_f16_e32 v142, 0xb1e1, v104
	v_mov_b32_e32 v141, 0x35c8
	v_mul_f16_sdwa v143, v106, v91 dst_sel:DWORD dst_unused:UNUSED_PAD src0_sel:WORD_1 src1_sel:DWORD
	v_add_f16_e32 v130, v144, v130
	v_fmamk_f16 v144, v106, 0xb461, v140
	v_add_f16_e32 v137, v138, v137
	v_add_f16_e32 v124, v142, v124
	v_mul_f16_sdwa v138, v104, v141 dst_sel:DWORD dst_unused:UNUSED_PAD src0_sel:WORD_1 src1_sel:DWORD
	v_fmamk_f16 v142, v104, 0xbbb2, v143
	v_add_f16_e32 v135, v144, v135
	v_fmac_f16_e32 v143, 0x3bb2, v104
	v_fma_f16 v140, v106, 0xb461, -v140
	v_fmamk_f16 v144, v106, 0x3b76, v138
	v_add_f16_e32 v142, v142, v109
	v_mul_f16_sdwa v109, v106, v111 dst_sel:DWORD dst_unused:UNUSED_PAD src0_sel:WORD_1 src1_sel:DWORD
	v_add_f16_e32 v136, v143, v136
	v_add_f16_e32 v140, v140, v110
	;; [unrolled: 1-line block ×3, first 2 shown]
	v_mul_f16_sdwa v144, v106, v87 dst_sel:DWORD dst_unused:UNUSED_PAD src0_sel:WORD_1 src1_sel:DWORD
	v_fmamk_f16 v143, v104, 0xb5c8, v109
	v_fmac_f16_e32 v109, 0x35c8, v104
	v_mul_f16_sdwa v110, v104, v112 dst_sel:DWORD dst_unused:UNUSED_PAD src0_sel:WORD_1 src1_sel:DWORD
	v_fma_f16 v138, v106, 0x3b76, -v138
	v_add_f16_e32 v132, v145, v132
	v_add_f16_e32 v114, v143, v114
	v_fmamk_f16 v143, v104, 0x3b29, v144
	v_add_f16_e32 v116, v109, v116
	v_mul_f16_sdwa v109, v104, v93 dst_sel:DWORD dst_unused:UNUSED_PAD src0_sel:WORD_1 src1_sel:DWORD
	v_fmac_f16_e32 v144, 0xbb29, v104
	v_fmamk_f16 v145, v106, 0x3722, v110
	v_add_f16_e32 v115, v138, v115
	v_add_f16_e32 v119, v143, v119
	v_mul_f16_sdwa v138, v106, v86 dst_sel:DWORD dst_unused:UNUSED_PAD src0_sel:WORD_1 src1_sel:DWORD
	v_fma_f16 v110, v106, 0x3722, -v110
	v_fmamk_f16 v143, v106, 0xbacd, v109
	v_add_f16_e32 v121, v144, v121
	v_fma_f16 v144, v106, 0xbacd, -v109
	v_pk_add_f16 v109, v42, v43 neg_lo:[0,1] neg_hi:[0,1]
	v_add_f16_e32 v117, v145, v117
	v_mov_b32_e32 v145, 0x3a62
	v_fmamk_f16 v146, v104, 0x3836, v138
	v_add_f16_e32 v120, v110, v120
	v_fmac_f16_e32 v138, 0xb836, v104
	v_mul_f16_sdwa v147, v106, v94 dst_sel:DWORD dst_unused:UNUSED_PAD src0_sel:WORD_1 src1_sel:DWORD
	v_pk_add_f16 v110, v43, v42
	v_pk_mul_f16 v43, 0xbbb2, v109 op_sel_hi:[0,1]
	v_add_f16_e32 v122, v143, v122
	v_mul_f16_sdwa v143, v104, v145 dst_sel:DWORD dst_unused:UNUSED_PAD src0_sel:WORD_1 src1_sel:DWORD
	v_add_f16_e32 v118, v138, v118
	v_fmamk_f16 v138, v104, 0xba62, v147
	v_pk_fma_f16 v42, 0xb461, v110, v43 op_sel:[0,0,1] op_sel_hi:[0,1,0]
	v_pk_fma_f16 v43, 0xb461, v110, v43 op_sel:[0,0,1] op_sel_hi:[0,1,0] neg_lo:[0,0,1] neg_hi:[0,0,1]
	v_add_f16_e32 v123, v146, v123
	v_fmamk_f16 v146, v106, 0xb8d2, v143
	v_fma_f16 v143, v106, 0xb8d2, -v143
	v_mul_f16_sdwa v134, v109, v134 dst_sel:DWORD dst_unused:UNUSED_PAD src0_sel:WORD_1 src1_sel:DWORD
	v_add_f16_e32 v126, v138, v126
	v_fmac_f16_e32 v147, 0x3a62, v104
	v_bfi_b32 v138, 0xffff, v42, v43
	v_add_f16_e32 v127, v144, v127
	v_add_f16_e32 v131, v143, v131
	v_fmamk_f16 v143, v110, 0xbacd, v134
	v_mul_f16_sdwa v144, v110, v86 dst_sel:DWORD dst_unused:UNUSED_PAD src0_sel:WORD_1 src1_sel:DWORD
	v_add_f16_e32 v125, v147, v125
	v_pk_add_f16 v129, v138, v129
	v_mul_f16_sdwa v138, v109, v108 dst_sel:DWORD dst_unused:UNUSED_PAD src0_sel:WORD_1 src1_sel:DWORD
	v_fma_f16 v134, v110, 0xbacd, -v134
	v_mul_f16_sdwa v147, v110, v88 dst_sel:DWORD dst_unused:UNUSED_PAD src0_sel:WORD_1 src1_sel:DWORD
	v_add_f16_e32 v128, v146, v128
	v_add_f16_e32 v130, v143, v130
	v_fmamk_f16 v143, v109, 0xb836, v144
	v_fmamk_f16 v146, v110, 0x39e9, v138
	v_add_f16_e32 v134, v134, v137
	v_fmamk_f16 v137, v109, 0xb964, v147
	v_mul_f16_sdwa v112, v109, v112 dst_sel:DWORD dst_unused:UNUSED_PAD src0_sel:WORD_1 src1_sel:DWORD
	v_fma_f16 v138, v110, 0x39e9, -v138
	v_fmac_f16_e32 v144, 0x3836, v109
	v_add_f16_e32 v132, v143, v132
	v_mul_f16_sdwa v143, v110, v87 dst_sel:DWORD dst_unused:UNUSED_PAD src0_sel:WORD_1 src1_sel:DWORD
	v_add_f16_e32 v137, v137, v142
	v_fmamk_f16 v142, v110, 0x3722, v112
	v_add_f16_e32 v138, v138, v140
	v_mul_f16_sdwa v140, v109, v105 dst_sel:DWORD dst_unused:UNUSED_PAD src0_sel:WORD_1 src1_sel:DWORD
	v_add_f16_e32 v124, v144, v124
	v_add_f16_e32 v135, v146, v135
	v_fmamk_f16 v144, v109, 0x3b29, v143
	v_add_f16_e32 v113, v142, v113
	v_fma_f16 v112, v110, 0x3722, -v112
	v_fmac_f16_e32 v143, 0xbb29, v109
	v_fmamk_f16 v142, v110, 0xbbdd, v140
	v_mul_f16_sdwa v146, v110, v107 dst_sel:DWORD dst_unused:UNUSED_PAD src0_sel:WORD_1 src1_sel:DWORD
	v_add_f16_e32 v114, v144, v114
	v_mov_b32_e32 v144, 0x3bf7
	v_add_f16_e32 v112, v112, v115
	v_add_f16_e32 v115, v143, v116
	;; [unrolled: 1-line block ×3, first 2 shown]
	v_fmamk_f16 v142, v109, 0x31e1, v146
	v_mul_f16_sdwa v143, v110, v101 dst_sel:DWORD dst_unused:UNUSED_PAD src0_sel:WORD_1 src1_sel:DWORD
	v_fmac_f16_e32 v147, 0x3964, v109
	v_mul_f16_sdwa v117, v109, v144 dst_sel:DWORD dst_unused:UNUSED_PAD src0_sel:WORD_1 src1_sel:DWORD
	v_fma_f16 v140, v110, 0xbbdd, -v140
	v_add_f16_e32 v119, v142, v119
	v_fmamk_f16 v142, v109, 0xbbf7, v143
	v_add_f16_e32 v136, v147, v136
	v_fmac_f16_e32 v146, 0xb1e1, v109
	v_fmamk_f16 v147, v110, 0x2de8, v117
	v_add_f16_e32 v120, v140, v120
	v_mul_f16_sdwa v140, v109, v139 dst_sel:DWORD dst_unused:UNUSED_PAD src0_sel:WORD_1 src1_sel:DWORD
	v_add_f16_e32 v123, v142, v123
	v_pk_add_f16 v142, v37, v40 neg_lo:[0,1] neg_hi:[0,1]
	v_add_f16_e32 v121, v146, v121
	v_add_f16_e32 v122, v147, v122
	v_fma_f16 v117, v110, 0x2de8, -v117
	v_fmac_f16_e32 v143, 0x3bf7, v109
	v_fmamk_f16 v146, v110, 0x3b76, v140
	v_mul_f16_sdwa v147, v110, v111 dst_sel:DWORD dst_unused:UNUSED_PAD src0_sel:WORD_1 src1_sel:DWORD
	v_pk_add_f16 v37, v40, v37
	v_pk_mul_f16 v40, 0xba62, v142 op_sel_hi:[0,1]
	v_add_f16_e32 v117, v117, v127
	v_add_f16_e32 v118, v143, v118
	;; [unrolled: 1-line block ×3, first 2 shown]
	v_fmamk_f16 v128, v109, 0x35c8, v147
	v_pk_fma_f16 v143, 0xb8d2, v37, v40 op_sel:[0,0,1] op_sel_hi:[0,1,0]
	v_pk_fma_f16 v40, 0xb8d2, v37, v40 op_sel:[0,0,1] op_sel_hi:[0,1,0] neg_lo:[0,0,1] neg_hi:[0,0,1]
	v_mul_f16_sdwa v133, v142, v133 dst_sel:DWORD dst_unused:UNUSED_PAD src0_sel:WORD_1 src1_sel:DWORD
	v_fmac_f16_e32 v147, 0xb5c8, v109
	v_fma_f16 v140, v110, 0x3b76, -v140
	v_add_f16_e32 v126, v128, v126
	v_bfi_b32 v128, 0xffff, v143, v40
	v_fmamk_f16 v146, v37, 0xb461, v133
	v_add_f16_e32 v125, v147, v125
	v_fma_f16 v133, v37, 0xb461, -v133
	v_mul_f16_sdwa v147, v37, v111 dst_sel:DWORD dst_unused:UNUSED_PAD src0_sel:WORD_1 src1_sel:DWORD
	v_add_f16_e32 v131, v140, v131
	v_mul_f16_sdwa v140, v37, v91 dst_sel:DWORD dst_unused:UNUSED_PAD src0_sel:WORD_1 src1_sel:DWORD
	v_pk_add_f16 v128, v128, v129
	v_add_f16_e32 v129, v146, v130
	v_mul_f16_sdwa v130, v142, v139 dst_sel:DWORD dst_unused:UNUSED_PAD src0_sel:WORD_1 src1_sel:DWORD
	v_add_f16_e32 v133, v133, v134
	v_fmamk_f16 v134, v142, 0x35c8, v147
	v_fmamk_f16 v146, v142, 0xbbb2, v140
	v_fmac_f16_e32 v140, 0x3bb2, v142
	v_fmamk_f16 v148, v37, 0x3b76, v130
	v_fma_f16 v130, v37, 0x3b76, -v130
	v_add_f16_e32 v134, v134, v137
	v_mul_f16_sdwa v137, v37, v86 dst_sel:DWORD dst_unused:UNUSED_PAD src0_sel:WORD_1 src1_sel:DWORD
	v_add_f16_e32 v124, v140, v124
	v_mul_f16_sdwa v140, v142, v93 dst_sel:DWORD dst_unused:UNUSED_PAD src0_sel:WORD_1 src1_sel:DWORD
	;; [unrolled: 2-line block ×3, first 2 shown]
	v_fmamk_f16 v144, v142, 0x3836, v137
	v_add_f16_e32 v132, v146, v132
	v_fmamk_f16 v146, v37, 0xbacd, v140
	v_fma_f16 v140, v37, 0xbacd, -v140
	v_fmac_f16_e32 v137, 0xb836, v142
	v_add_f16_e32 v114, v144, v114
	v_mul_f16_sdwa v144, v37, v101 dst_sel:DWORD dst_unused:UNUSED_PAD src0_sel:WORD_1 src1_sel:DWORD
	v_add_f16_e32 v113, v146, v113
	v_add_f16_e32 v112, v140, v112
	;; [unrolled: 1-line block ×3, first 2 shown]
	v_mul_f16_sdwa v140, v37, v88 dst_sel:DWORD dst_unused:UNUSED_PAD src0_sel:WORD_1 src1_sel:DWORD
	v_fmamk_f16 v137, v142, 0xbbf7, v144
	v_fmamk_f16 v146, v37, 0x2de8, v138
	v_mul_f16_sdwa v103, v142, v103 dst_sel:DWORD dst_unused:UNUSED_PAD src0_sel:WORD_1 src1_sel:DWORD
	v_fma_f16 v138, v37, 0x2de8, -v138
	v_fmac_f16_e32 v144, 0x3bf7, v142
	v_add_f16_e32 v119, v137, v119
	v_fmamk_f16 v137, v142, 0x3964, v140
	v_add_f16_e32 v116, v146, v116
	v_fmamk_f16 v146, v37, 0x39e9, v103
	v_add_f16_e32 v120, v138, v120
	v_mul_f16_sdwa v138, v142, v105 dst_sel:DWORD dst_unused:UNUSED_PAD src0_sel:WORD_1 src1_sel:DWORD
	v_add_f16_e32 v123, v137, v123
	v_pk_add_f16 v137, v38, v39 neg_lo:[0,1] neg_hi:[0,1]
	v_add_f16_e32 v121, v144, v121
	v_add_f16_e32 v122, v146, v122
	v_fma_f16 v103, v37, 0x39e9, -v103
	v_fmac_f16_e32 v140, 0xb964, v142
	v_fmamk_f16 v144, v37, 0xbbdd, v138
	v_mul_f16_sdwa v146, v37, v107 dst_sel:DWORD dst_unused:UNUSED_PAD src0_sel:WORD_1 src1_sel:DWORD
	v_pk_add_f16 v38, v39, v38
	v_pk_mul_f16 v39, 0xb836, v137 op_sel_hi:[0,1]
	v_fmac_f16_e32 v147, 0xb5c8, v142
	v_add_f16_e32 v103, v103, v117
	v_add_f16_e32 v117, v140, v118
	;; [unrolled: 1-line block ×3, first 2 shown]
	v_fmamk_f16 v127, v142, 0x31e1, v146
	v_pk_fma_f16 v140, 0xbacd, v38, v39 op_sel:[0,0,1] op_sel_hi:[0,1,0]
	v_pk_fma_f16 v39, 0xbacd, v38, v39 op_sel:[0,0,1] op_sel_hi:[0,1,0] neg_lo:[0,0,1] neg_hi:[0,0,1]
	v_mul_f16_sdwa v144, v137, v102 dst_sel:DWORD dst_unused:UNUSED_PAD src0_sel:WORD_1 src1_sel:DWORD
	v_fma_f16 v138, v37, 0xbbdd, -v138
	v_add_f16_e32 v136, v147, v136
	v_add_f16_e32 v126, v127, v126
	v_bfi_b32 v127, 0xffff, v140, v39
	v_fmamk_f16 v147, v38, 0x3722, v144
	v_add_f16_e32 v131, v138, v131
	v_mul_f16_sdwa v138, v38, v87 dst_sel:DWORD dst_unused:UNUSED_PAD src0_sel:WORD_1 src1_sel:DWORD
	v_fma_f16 v144, v38, 0x3722, -v144
	v_pk_add_f16 v127, v127, v128
	v_add_f16_e32 v128, v147, v129
	v_mul_f16_sdwa v101, v38, v101 dst_sel:DWORD dst_unused:UNUSED_PAD src0_sel:WORD_1 src1_sel:DWORD
	v_fmamk_f16 v129, v137, 0xbb29, v138
	v_fmac_f16_e32 v146, 0xb1e1, v142
	v_mul_f16_sdwa v100, v137, v100 dst_sel:DWORD dst_unused:UNUSED_PAD src0_sel:WORD_1 src1_sel:DWORD
	v_fmac_f16_e32 v138, 0x3b29, v137
	v_mul_f16_sdwa v107, v38, v107 dst_sel:DWORD dst_unused:UNUSED_PAD src0_sel:WORD_1 src1_sel:DWORD
	v_add_f16_e32 v129, v129, v132
	v_add_f16_e32 v132, v144, v133
	v_fmamk_f16 v133, v137, 0x3bf7, v101
	v_fmac_f16_e32 v101, 0xbbf7, v137
	v_add_f16_e32 v125, v146, v125
	v_fmamk_f16 v146, v38, 0x2de8, v100
	v_fma_f16 v100, v38, 0x2de8, -v100
	v_add_f16_e32 v133, v133, v134
	v_mul_f16_sdwa v134, v38, v94 dst_sel:DWORD dst_unused:UNUSED_PAD src0_sel:WORD_1 src1_sel:DWORD
	v_add_f16_e32 v101, v101, v136
	v_add_f16_e32 v124, v138, v124
	v_mul_f16_sdwa v138, v137, v145 dst_sel:DWORD dst_unused:UNUSED_PAD src0_sel:WORD_1 src1_sel:DWORD
	v_add_f16_e32 v100, v100, v130
	v_fmamk_f16 v136, v137, 0xba62, v134
	v_fmac_f16_e32 v134, 0x3a62, v137
	v_mul_f16_sdwa v130, v137, v139 dst_sel:DWORD dst_unused:UNUSED_PAD src0_sel:WORD_1 src1_sel:DWORD
	v_fmamk_f16 v144, v38, 0xb8d2, v138
	v_fma_f16 v138, v38, 0xb8d2, -v138
	v_add_f16_e32 v114, v136, v114
	v_mul_f16_sdwa v136, v38, v111 dst_sel:DWORD dst_unused:UNUSED_PAD src0_sel:WORD_1 src1_sel:DWORD
	v_add_f16_e32 v115, v134, v115
	v_fmamk_f16 v139, v38, 0x3b76, v130
	v_mul_f16_sdwa v105, v137, v105 dst_sel:DWORD dst_unused:UNUSED_PAD src0_sel:WORD_1 src1_sel:DWORD
	v_fma_f16 v130, v38, 0x3b76, -v130
	v_fmamk_f16 v134, v137, 0x35c8, v136
	v_add_f16_e32 v112, v138, v112
	v_fmac_f16_e32 v136, 0xb5c8, v137
	v_fmamk_f16 v138, v38, 0xbbdd, v105
	v_add_f16_e32 v120, v130, v120
	v_add_f16_e32 v119, v134, v119
	v_fmamk_f16 v134, v137, 0x31e1, v107
	v_mul_f16_sdwa v130, v137, v108 dst_sel:DWORD dst_unused:UNUSED_PAD src0_sel:WORD_1 src1_sel:DWORD
	v_add_f16_e32 v121, v136, v121
	v_add_f16_e32 v122, v138, v122
	v_fma_f16 v105, v38, 0xbbdd, -v105
	v_add_f16_e32 v123, v134, v123
	v_pk_add_f16 v134, v35, v36 neg_lo:[0,1] neg_hi:[0,1]
	v_fmac_f16_e32 v107, 0xb1e1, v137
	v_fmamk_f16 v136, v38, 0x39e9, v130
	v_mul_f16_sdwa v138, v38, v88 dst_sel:DWORD dst_unused:UNUSED_PAD src0_sel:WORD_1 src1_sel:DWORD
	v_pk_add_f16 v35, v36, v35
	v_pk_mul_f16 v36, 0xb1e1, v134 op_sel_hi:[0,1]
	v_add_f16_e32 v103, v105, v103
	v_add_f16_e32 v105, v107, v117
	v_fmamk_f16 v107, v137, 0xb964, v138
	v_add_f16_e32 v117, v136, v118
	v_pk_fma_f16 v118, 0xbbdd, v35, v36 op_sel:[0,0,1] op_sel_hi:[0,1,0]
	v_pk_fma_f16 v36, 0xbbdd, v35, v36 op_sel:[0,0,1] op_sel_hi:[0,1,0] neg_lo:[0,0,1] neg_hi:[0,0,1]
	v_mul_f16_sdwa v111, v35, v111 dst_sel:DWORD dst_unused:UNUSED_PAD src0_sel:WORD_1 src1_sel:DWORD
	v_add_f16_e32 v107, v107, v126
	v_fma_f16 v126, v38, 0x39e9, -v130
	v_add_f16_e32 v135, v148, v135
	v_bfi_b32 v130, 0xffff, v118, v36
	v_mul_f16_sdwa v136, v134, v141 dst_sel:DWORD dst_unused:UNUSED_PAD src0_sel:WORD_1 src1_sel:DWORD
	v_mul_f16_sdwa v108, v134, v108 dst_sel:DWORD dst_unused:UNUSED_PAD src0_sel:WORD_1 src1_sel:DWORD
	v_add_f16_e32 v126, v126, v131
	v_mul_f16_sdwa v131, v134, v93 dst_sel:DWORD dst_unused:UNUSED_PAD src0_sel:WORD_1 src1_sel:DWORD
	v_pk_add_f16 v127, v130, v127
	v_fmamk_f16 v130, v134, 0xb5c8, v111
	v_add_f16_e32 v135, v146, v135
	v_fma_f16 v93, v35, 0x3b76, -v136
	v_fmac_f16_e32 v111, 0x35c8, v134
	v_add_f16_e32 v116, v139, v116
	v_add_f16_e32 v129, v130, v129
	v_fmamk_f16 v130, v35, 0xbacd, v131
	v_fmamk_f16 v139, v35, 0x3b76, v136
	v_mul_f16_sdwa v136, v35, v86 dst_sel:DWORD dst_unused:UNUSED_PAD src0_sel:WORD_1 src1_sel:DWORD
	v_add_f16_e32 v86, v93, v132
	v_add_f16_e32 v93, v111, v124
	;; [unrolled: 1-line block ×3, first 2 shown]
	v_fma_f16 v130, v35, 0xbacd, -v131
	v_mul_f16_sdwa v88, v35, v88 dst_sel:DWORD dst_unused:UNUSED_PAD src0_sel:WORD_1 src1_sel:DWORD
	v_add_f16_e32 v113, v144, v113
	v_fmamk_f16 v131, v35, 0x39e9, v108
	v_mul_f16_sdwa v97, v134, v97 dst_sel:DWORD dst_unused:UNUSED_PAD src0_sel:WORD_1 src1_sel:DWORD
	v_add_f16_e32 v100, v130, v100
	v_fmamk_f16 v130, v134, 0xb964, v88
	v_fmac_f16_e32 v88, 0x3964, v134
	v_mul_f16_sdwa v94, v35, v94 dst_sel:DWORD dst_unused:UNUSED_PAD src0_sel:WORD_1 src1_sel:DWORD
	v_add_f16_e32 v113, v131, v113
	v_fma_f16 v108, v35, 0x39e9, -v108
	v_fmamk_f16 v131, v35, 0xb8d2, v97
	v_mul_f16_sdwa v102, v134, v102 dst_sel:DWORD dst_unused:UNUSED_PAD src0_sel:WORD_1 src1_sel:DWORD
	v_fmamk_f16 v111, v134, 0x3836, v136
	v_add_f16_e32 v88, v88, v115
	v_fmamk_f16 v115, v134, 0x3a62, v94
	v_fma_f16 v97, v35, 0xb8d2, -v97
	v_mul_f16_sdwa v87, v35, v87 dst_sel:DWORD dst_unused:UNUSED_PAD src0_sel:WORD_1 src1_sel:DWORD
	v_mul_f16_sdwa v91, v35, v91 dst_sel:DWORD dst_unused:UNUSED_PAD src0_sel:WORD_1 src1_sel:DWORD
	v_add_f16_e32 v108, v108, v112
	v_add_f16_e32 v112, v131, v116
	v_fmamk_f16 v116, v35, 0x3722, v102
	v_fma_f16 v102, v35, 0x3722, -v102
	v_mul_f16_sdwa v90, v134, v90 dst_sel:DWORD dst_unused:UNUSED_PAD src0_sel:WORD_1 src1_sel:DWORD
	v_add_f16_e32 v128, v139, v128
	v_add_f16_e32 v111, v111, v133
	;; [unrolled: 1-line block ×4, first 2 shown]
	v_fmamk_f16 v119, v134, 0xbb29, v87
	v_fmac_f16_e32 v87, 0x3b29, v134
	v_fmamk_f16 v120, v134, 0x3bb2, v91
	v_add_f16_e32 v102, v102, v103
	v_fmamk_f16 v103, v35, 0xb461, v90
	v_pack_b32_f16 v112, v112, v115
	v_add_f16_e32 v87, v87, v105
	v_add_f16_e32 v105, v120, v107
	v_pack_b32_f16 v107, v124, v111
	v_pack_b32_f16 v111, v128, v129
	v_add_f16_e32 v103, v103, v117
	v_pk_fma_f16 v115, 0xb1e1, v81, v82 op_sel:[0,0,1] op_sel_hi:[0,1,0]
	ds_write2_b32 v45, v83, v127 offset1:1
	ds_write2_b32 v45, v111, v107 offset0:2 offset1:3
	v_pk_mul_f16 v83, 0x3b76, v92 op_sel_hi:[0,1]
	v_pack_b32_f16 v103, v103, v105
	v_alignbit_b32 v92, s0, v115, 16
	v_pk_fma_f16 v81, 0xb1e1, v81, v82 op_sel:[0,0,1] op_sel_hi:[0,1,0] neg_lo:[0,1,0] neg_hi:[0,1,0]
	v_pk_mul_f16 v99, 0xbacd, v99 op_sel_hi:[0,1]
	v_pk_fma_f16 v82, 0x35c8, v89, v83 op_sel:[0,0,1] op_sel_hi:[0,1,0]
	v_alignbit_b32 v105, s0, v33, 16
	v_pk_add_f16 v92, v33, v92
	v_pk_add_f16 v81, v33, v81 op_sel:[1,0] op_sel_hi:[0,1]
	v_pk_fma_f16 v83, 0x35c8, v89, v83 op_sel:[0,0,1] op_sel_hi:[0,1,0] neg_lo:[0,1,0] neg_hi:[0,1,0]
	v_alignbit_b32 v107, s0, v82, 16
	v_pk_fma_f16 v89, 0xb836, v98, v99 op_sel:[0,0,1] op_sel_hi:[0,1,0]
	v_pk_add_f16 v105, v105, v115
	v_pk_mul_f16 v106, 0x39e9, v106 op_sel_hi:[0,1]
	v_pk_add_f16 v81, v83, v81
	v_pk_add_f16 v92, v107, v92
	v_alignbit_b32 v83, s0, v89, 16
	v_pk_fma_f16 v98, 0xb836, v98, v99 op_sel:[0,0,1] op_sel_hi:[0,1,0] neg_lo:[0,1,0] neg_hi:[0,1,0]
	v_pk_fma_f16 v99, 0x3964, v104, v106 op_sel:[0,0,1] op_sel_hi:[0,1,0]
	v_pk_add_f16 v82, v82, v105
	v_pk_mul_f16 v105, 0xb8d2, v110 op_sel_hi:[0,1]
	v_pk_add_f16 v83, v83, v92
	v_pk_add_f16 v81, v98, v81
	v_alignbit_b32 v92, s0, v99, 16
	v_pk_fma_f16 v98, 0x3964, v104, v106 op_sel:[0,0,1] op_sel_hi:[0,1,0] neg_lo:[0,1,0] neg_hi:[0,1,0]
	v_pk_fma_f16 v104, 0xba62, v109, v105 op_sel:[0,0,1] op_sel_hi:[0,1,0]
	v_pk_add_f16 v82, v89, v82
	v_pk_mul_f16 v37, 0x3722, v37 op_sel_hi:[0,1]
	v_pk_add_f16 v83, v92, v83
	v_pk_add_f16 v33, v33, v34
	v_alignbit_b32 v89, s0, v104, 16
	v_bfi_b32 v34, 0xffff, v85, v84
	v_pk_add_f16 v81, v98, v81
	v_pk_fma_f16 v92, 0xba62, v109, v105 op_sel:[0,0,1] op_sel_hi:[0,1,0] neg_lo:[0,1,0] neg_hi:[0,1,0]
	v_pk_mul_f16 v38, 0xb461, v38 op_sel_hi:[0,1]
	v_pk_add_f16 v80, v89, v83
	v_pk_fma_f16 v83, 0x3b29, v142, v37 op_sel:[0,0,1] op_sel_hi:[0,1,0]
	v_pk_add_f16 v33, v34, v33
	v_bfi_b32 v34, 0xffff, v96, v95
	v_pk_add_f16 v82, v99, v82
	v_pk_add_f16 v81, v92, v81
	v_alignbit_b32 v84, s0, v83, 16
	v_pk_fma_f16 v37, 0x3b29, v142, v37 op_sel:[0,0,1] op_sel_hi:[0,1,0] neg_lo:[0,1,0] neg_hi:[0,1,0]
	v_pk_fma_f16 v85, 0xbbb2, v137, v38 op_sel:[0,0,1] op_sel_hi:[0,1,0]
	v_pk_add_f16 v33, v34, v33
	v_bfi_b32 v34, 0xffff, v44, v41
	v_fma_f16 v90, v35, 0xb461, -v90
	v_pk_add_f16 v82, v104, v82
	v_pk_add_f16 v80, v84, v80
	;; [unrolled: 1-line block ×3, first 2 shown]
	v_alignbit_b32 v81, s0, v85, 16
	v_pk_mul_f16 v35, 0x2de8, v35 op_sel_hi:[0,1]
	v_pk_add_f16 v33, v34, v33
	v_bfi_b32 v34, 0xffff, v43, v42
	v_pk_add_f16 v41, v83, v82
	v_pk_fma_f16 v38, 0xbbb2, v137, v38 op_sel:[0,0,1] op_sel_hi:[0,1,0] neg_lo:[0,1,0] neg_hi:[0,1,0]
	v_pk_add_f16 v44, v81, v80
	v_pk_fma_f16 v80, 0x3bf7, v134, v35 op_sel:[0,0,1] op_sel_hi:[0,1,0]
	v_fmac_f16_e32 v138, 0x3964, v137
	v_pk_add_f16 v33, v34, v33
	v_bfi_b32 v34, 0xffff, v40, v143
	v_pk_add_f16 v37, v38, v37
	v_pk_fma_f16 v35, 0x3bf7, v134, v35 op_sel:[0,0,1] op_sel_hi:[0,1,0] neg_lo:[0,1,0] neg_hi:[0,1,0]
	v_pk_add_f16 v38, v85, v41
	v_alignbit_b32 v41, s0, v80, 16
	v_add_f16_e32 v125, v138, v125
	v_fmac_f16_e32 v91, 0xbbb2, v134
	v_fmac_f16_e32 v94, 0xba62, v134
	;; [unrolled: 1-line block ×3, first 2 shown]
	v_pk_add_f16 v33, v34, v33
	v_bfi_b32 v34, 0xffff, v39, v140
	v_add_f16_e32 v114, v130, v114
	v_add_f16_e32 v116, v116, v122
	;; [unrolled: 1-line block ×3, first 2 shown]
	v_pk_add_f16 v35, v35, v37
	v_pk_add_f16 v37, v80, v38
	v_pk_add_f16 v38, v41, v44
	v_add_f16_e32 v90, v90, v126
	v_add_f16_e32 v91, v91, v125
	v_add_f16_e32 v94, v94, v121
	v_add_f16_e32 v101, v136, v101
	v_pk_add_f16 v33, v34, v33
	v_bfi_b32 v34, 0xffff, v36, v118
	v_pack_b32_f16 v113, v113, v114
	v_pack_b32_f16 v106, v116, v119
	v_alignbit_b32 v37, v37, v35, 16
	v_pack_b32_f16 v35, v38, v35
	v_pack_b32_f16 v38, v102, v87
	;; [unrolled: 1-line block ×7, first 2 shown]
	v_pk_add_f16 v80, v34, v33
	v_add_nc_u32_e32 v33, 0x200, v47
	ds_write2_b32 v45, v113, v112 offset0:4 offset1:5
	ds_write2_b32 v45, v106, v103 offset0:6 offset1:7
	;; [unrolled: 1-line block ×6, first 2 shown]
	ds_write_b32 v45, v80 offset:64
	v_add_nc_u32_e32 v37, 0xa00, v47
	s_waitcnt lgkmcnt(0)
	s_barrier
	buffer_gl0_inv
	ds_read2_b32 v[35:36], v47 offset1:85
	ds_read2_b32 v[33:34], v33 offset0:42 offset1:161
	ds_read2_b32 v[45:46], v46 offset0:66 offset1:151
	ds_read2_b32 v[39:40], v37 offset0:108 offset1:227
	ds_read2_b32 v[43:44], v79 offset0:132 offset1:217
	ds_read2_b32 v[41:42], v77 offset0:118 offset1:203
	ds_read2_b32 v[37:38], v78 offset0:56 offset1:141
	ds_read_b32 v78, v47 offset:5304
	v_lshrrev_b32_e32 v77, 16, v80
	s_and_saveexec_b32 s0, vcc_lo
	s_cbranch_execz .LBB0_7
; %bb.6:
	ds_read_b32 v86, v47 offset:1020
	ds_read_b32 v80, v47 offset:2176
	;; [unrolled: 1-line block ×5, first 2 shown]
	s_waitcnt lgkmcnt(4)
	v_lshrrev_b32_e32 v93, 16, v86
	s_waitcnt lgkmcnt(3)
	v_lshrrev_b32_e32 v77, 16, v80
	;; [unrolled: 2-line block ×5, first 2 shown]
.LBB0_7:
	s_or_b32 exec_lo, exec_lo, s0
	s_waitcnt lgkmcnt(6)
	v_lshrrev_b32_e32 v81, 16, v34
	s_waitcnt lgkmcnt(4)
	v_lshrrev_b32_e32 v83, 16, v40
	v_lshrrev_b32_e32 v82, 16, v45
	s_waitcnt lgkmcnt(3)
	v_lshrrev_b32_e32 v84, 16, v43
	s_waitcnt lgkmcnt(2)
	v_lshrrev_b32_e32 v87, 16, v41
	v_mul_f16_sdwa v97, v12, v81 dst_sel:DWORD dst_unused:UNUSED_PAD src0_sel:WORD_1 src1_sel:DWORD
	v_mul_f16_sdwa v101, v14, v83 dst_sel:DWORD dst_unused:UNUSED_PAD src0_sel:WORD_1 src1_sel:DWORD
	s_waitcnt lgkmcnt(1)
	v_lshrrev_b32_e32 v89, 16, v37
	v_mul_f16_sdwa v98, v12, v34 dst_sel:DWORD dst_unused:UNUSED_PAD src0_sel:WORD_1 src1_sel:DWORD
	v_mul_f16_sdwa v99, v13, v82 dst_sel:DWORD dst_unused:UNUSED_PAD src0_sel:WORD_1 src1_sel:DWORD
	v_mul_f16_sdwa v100, v13, v45 dst_sel:DWORD dst_unused:UNUSED_PAD src0_sel:WORD_1 src1_sel:DWORD
	v_fmac_f16_e32 v97, v12, v34
	v_fmac_f16_e32 v101, v14, v40
	v_mul_f16_sdwa v34, v14, v40 dst_sel:DWORD dst_unused:UNUSED_PAD src0_sel:WORD_1 src1_sel:DWORD
	v_mul_f16_sdwa v40, v15, v84 dst_sel:DWORD dst_unused:UNUSED_PAD src0_sel:WORD_1 src1_sel:DWORD
	v_lshrrev_b32_e32 v88, 16, v46
	v_lshrrev_b32_e32 v90, 16, v44
	v_fma_f16 v12, v12, v81, -v98
	v_fmac_f16_e32 v99, v13, v45
	v_fma_f16 v13, v13, v82, -v100
	v_mul_f16_sdwa v45, v15, v43 dst_sel:DWORD dst_unused:UNUSED_PAD src0_sel:WORD_1 src1_sel:DWORD
	v_mul_f16_sdwa v81, v8, v87 dst_sel:DWORD dst_unused:UNUSED_PAD src0_sel:WORD_1 src1_sel:DWORD
	;; [unrolled: 1-line block ×3, first 2 shown]
	v_fmac_f16_e32 v40, v15, v43
	v_mul_f16_sdwa v43, v10, v89 dst_sel:DWORD dst_unused:UNUSED_PAD src0_sel:WORD_1 src1_sel:DWORD
	v_lshrrev_b32_e32 v92, 16, v42
	v_lshrrev_b32_e32 v94, 16, v39
	v_fma_f16 v14, v14, v83, -v34
	v_fma_f16 v15, v15, v84, -v45
	v_fmac_f16_e32 v81, v8, v41
	v_fma_f16 v8, v8, v87, -v82
	v_mul_f16_sdwa v34, v9, v88 dst_sel:DWORD dst_unused:UNUSED_PAD src0_sel:WORD_1 src1_sel:DWORD
	v_mul_f16_sdwa v41, v9, v46 dst_sel:DWORD dst_unused:UNUSED_PAD src0_sel:WORD_1 src1_sel:DWORD
	v_mul_f16_sdwa v45, v10, v37 dst_sel:DWORD dst_unused:UNUSED_PAD src0_sel:WORD_1 src1_sel:DWORD
	v_mul_f16_sdwa v82, v11, v90 dst_sel:DWORD dst_unused:UNUSED_PAD src0_sel:WORD_1 src1_sel:DWORD
	v_fmac_f16_e32 v43, v10, v37
	v_mul_f16_sdwa v37, v11, v44 dst_sel:DWORD dst_unused:UNUSED_PAD src0_sel:WORD_1 src1_sel:DWORD
	v_lshrrev_b32_e32 v95, 16, v38
	v_fmac_f16_e32 v34, v9, v46
	v_fma_f16 v9, v9, v88, -v41
	v_fma_f16 v10, v10, v89, -v45
	v_fmac_f16_e32 v82, v11, v44
	v_mul_f16_sdwa v41, v4, v92 dst_sel:DWORD dst_unused:UNUSED_PAD src0_sel:WORD_1 src1_sel:DWORD
	v_mul_f16_sdwa v45, v5, v94 dst_sel:DWORD dst_unused:UNUSED_PAD src0_sel:WORD_1 src1_sel:DWORD
	;; [unrolled: 1-line block ×3, first 2 shown]
	v_fma_f16 v11, v11, v90, -v37
	v_add_f16_e32 v37, v99, v101
	s_waitcnt lgkmcnt(0)
	v_lshrrev_b32_e32 v96, 16, v78
	v_mul_f16_sdwa v44, v4, v42 dst_sel:DWORD dst_unused:UNUSED_PAD src0_sel:WORD_1 src1_sel:DWORD
	v_fmac_f16_e32 v41, v4, v42
	v_fmac_f16_e32 v45, v5, v39
	v_fma_f16 v5, v5, v94, -v46
	v_mul_f16_sdwa v39, v6, v95 dst_sel:DWORD dst_unused:UNUSED_PAD src0_sel:WORD_1 src1_sel:DWORD
	v_mul_f16_sdwa v42, v6, v38 dst_sel:DWORD dst_unused:UNUSED_PAD src0_sel:WORD_1 src1_sel:DWORD
	v_add_f16_e32 v46, v35, v97
	v_fma_f16 v37, -0.5, v37, v35
	v_sub_f16_e32 v83, v12, v15
	v_lshrrev_b32_e32 v79, 16, v35
	v_fma_f16 v4, v4, v92, -v44
	v_mul_f16_sdwa v44, v7, v96 dst_sel:DWORD dst_unused:UNUSED_PAD src0_sel:WORD_1 src1_sel:DWORD
	v_fmac_f16_e32 v39, v6, v38
	v_fma_f16 v6, v6, v95, -v42
	v_add_f16_e32 v38, v46, v99
	v_fmamk_f16 v42, v83, 0xbb9c, v37
	v_sub_f16_e32 v46, v13, v14
	v_sub_f16_e32 v84, v97, v99
	;; [unrolled: 1-line block ×3, first 2 shown]
	v_add_f16_e32 v88, v97, v40
	v_fmac_f16_e32 v37, 0x3b9c, v83
	v_fmac_f16_e32 v44, v7, v78
	v_mul_f16_sdwa v78, v7, v78 dst_sel:DWORD dst_unused:UNUSED_PAD src0_sel:WORD_1 src1_sel:DWORD
	v_add_f16_e32 v38, v38, v101
	v_fmac_f16_e32 v42, 0xb8b4, v46
	v_add_f16_e32 v84, v84, v87
	v_fma_f16 v35, -0.5, v88, v35
	v_sub_f16_e32 v87, v99, v97
	v_sub_f16_e32 v88, v101, v40
	v_fmac_f16_e32 v37, 0x38b4, v46
	v_add_f16_e32 v89, v79, v12
	v_add_f16_e32 v90, v13, v14
	v_fma_f16 v7, v7, v96, -v78
	v_add_f16_e32 v38, v38, v40
	v_fmac_f16_e32 v42, 0x34f2, v84
	v_fmamk_f16 v78, v46, 0x3b9c, v35
	v_add_f16_e32 v87, v87, v88
	v_fmac_f16_e32 v35, 0xbb9c, v46
	v_add_f16_e32 v46, v89, v13
	v_fma_f16 v88, -0.5, v90, v79
	v_sub_f16_e32 v40, v97, v40
	v_fmac_f16_e32 v37, 0x34f2, v84
	v_add_f16_e32 v84, v12, v15
	v_sub_f16_e32 v90, v12, v13
	v_sub_f16_e32 v12, v13, v12
	v_sub_f16_e32 v13, v14, v15
	v_fmac_f16_e32 v78, 0xb8b4, v83
	v_fmac_f16_e32 v35, 0x38b4, v83
	v_add_f16_e32 v46, v46, v14
	v_fmamk_f16 v83, v40, 0x3b9c, v88
	v_sub_f16_e32 v89, v99, v101
	v_sub_f16_e32 v92, v15, v14
	v_fmac_f16_e32 v79, -0.5, v84
	v_fmac_f16_e32 v88, 0xbb9c, v40
	v_add_f16_e32 v14, v34, v43
	v_add_f16_e32 v12, v12, v13
	;; [unrolled: 1-line block ×3, first 2 shown]
	v_lshrrev_b32_e32 v85, 16, v36
	v_fmac_f16_e32 v78, 0x34f2, v87
	v_fmac_f16_e32 v35, 0x34f2, v87
	v_add_f16_e32 v46, v46, v15
	v_fmac_f16_e32 v83, 0x38b4, v89
	v_add_f16_e32 v84, v90, v92
	v_fmamk_f16 v87, v89, 0xbb9c, v79
	v_fmac_f16_e32 v88, 0xb8b4, v89
	v_fma_f16 v14, -0.5, v14, v36
	v_sub_f16_e32 v15, v8, v11
	v_fmac_f16_e32 v79, 0x3b9c, v89
	v_add_f16_e32 v13, v13, v34
	v_sub_f16_e32 v90, v81, v34
	v_sub_f16_e32 v92, v82, v43
	v_add_f16_e32 v94, v81, v82
	v_fmac_f16_e32 v83, 0x34f2, v84
	v_fmac_f16_e32 v87, 0x38b4, v40
	;; [unrolled: 1-line block ×3, first 2 shown]
	v_fmamk_f16 v84, v15, 0xbb9c, v14
	v_sub_f16_e32 v89, v9, v10
	v_fmac_f16_e32 v79, 0xb8b4, v40
	v_add_f16_e32 v13, v13, v43
	v_add_f16_e32 v40, v90, v92
	v_fmac_f16_e32 v36, -0.5, v94
	v_fmac_f16_e32 v14, 0x3b9c, v15
	v_sub_f16_e32 v90, v34, v81
	v_sub_f16_e32 v92, v43, v82
	v_add_f16_e32 v94, v85, v8
	v_add_f16_e32 v95, v9, v10
	v_fmac_f16_e32 v87, 0x34f2, v12
	v_fmac_f16_e32 v84, 0xb8b4, v89
	;; [unrolled: 1-line block ×3, first 2 shown]
	v_add_f16_e32 v12, v13, v82
	v_fmamk_f16 v13, v89, 0x3b9c, v36
	v_fmac_f16_e32 v14, 0x38b4, v89
	v_add_f16_e32 v90, v90, v92
	v_fmac_f16_e32 v36, 0xbb9c, v89
	v_add_f16_e32 v89, v94, v9
	v_fma_f16 v92, -0.5, v95, v85
	v_sub_f16_e32 v81, v81, v82
	v_add_f16_e32 v82, v8, v11
	v_fmac_f16_e32 v84, 0x34f2, v40
	v_fmac_f16_e32 v13, 0xb8b4, v15
	;; [unrolled: 1-line block ×4, first 2 shown]
	v_add_f16_e32 v15, v89, v10
	v_fmamk_f16 v40, v81, 0x3b9c, v92
	v_sub_f16_e32 v34, v34, v43
	v_sub_f16_e32 v43, v8, v9
	v_sub_f16_e32 v89, v11, v10
	v_fmac_f16_e32 v85, -0.5, v82
	v_fmac_f16_e32 v92, 0xbb9c, v81
	v_sub_f16_e32 v8, v9, v8
	v_sub_f16_e32 v9, v10, v11
	v_add_f16_e32 v10, v45, v39
	v_add_f16_e32 v15, v15, v11
	v_fmac_f16_e32 v40, 0x38b4, v34
	v_add_f16_e32 v43, v43, v89
	v_fmamk_f16 v82, v34, 0xbb9c, v85
	v_fmac_f16_e32 v92, 0xb8b4, v34
	v_add_f16_e32 v8, v8, v9
	v_fmac_f16_e32 v85, 0x3b9c, v34
	v_add_f16_e32 v9, v33, v41
	v_fma_f16 v10, -0.5, v10, v33
	v_sub_f16_e32 v11, v4, v7
	v_fmac_f16_e32 v13, 0x34f2, v90
	v_fmac_f16_e32 v36, 0x34f2, v90
	;; [unrolled: 1-line block ×6, first 2 shown]
	v_add_f16_e32 v9, v9, v45
	v_fmamk_f16 v34, v11, 0xbb9c, v10
	v_sub_f16_e32 v43, v5, v6
	v_sub_f16_e32 v81, v41, v45
	;; [unrolled: 1-line block ×3, first 2 shown]
	v_fmac_f16_e32 v10, 0x3b9c, v11
	v_add_f16_e32 v90, v41, v44
	v_lshrrev_b32_e32 v91, 16, v33
	v_add_f16_e32 v9, v9, v39
	v_fmac_f16_e32 v34, 0xb8b4, v43
	v_add_f16_e32 v81, v81, v89
	v_fmac_f16_e32 v10, 0x38b4, v43
	v_fmac_f16_e32 v33, -0.5, v90
	v_sub_f16_e32 v89, v45, v41
	v_sub_f16_e32 v90, v39, v44
	v_fmac_f16_e32 v82, 0x34f2, v8
	v_fmac_f16_e32 v85, 0x34f2, v8
	v_add_f16_e32 v8, v9, v44
	v_fmac_f16_e32 v34, 0x34f2, v81
	v_fmac_f16_e32 v10, 0x34f2, v81
	v_fmamk_f16 v9, v43, 0x3b9c, v33
	v_add_f16_e32 v81, v5, v6
	v_fmac_f16_e32 v33, 0xbb9c, v43
	v_sub_f16_e32 v41, v41, v44
	v_add_f16_e32 v44, v89, v90
	v_add_f16_e32 v89, v4, v7
	;; [unrolled: 1-line block ×3, first 2 shown]
	v_fma_f16 v81, -0.5, v81, v91
	v_fmac_f16_e32 v9, 0xb8b4, v11
	v_fmac_f16_e32 v33, 0x38b4, v11
	v_sub_f16_e32 v39, v45, v39
	v_fmac_f16_e32 v91, -0.5, v89
	v_add_f16_e32 v11, v43, v5
	v_fmamk_f16 v43, v41, 0x3b9c, v81
	v_fmac_f16_e32 v9, 0x34f2, v44
	v_fmac_f16_e32 v33, 0x34f2, v44
	v_sub_f16_e32 v44, v4, v5
	v_sub_f16_e32 v45, v7, v6
	v_fmac_f16_e32 v81, 0xbb9c, v41
	v_fmamk_f16 v89, v39, 0xbb9c, v91
	v_sub_f16_e32 v4, v5, v4
	v_sub_f16_e32 v5, v6, v7
	v_fmac_f16_e32 v91, 0x3b9c, v39
	v_add_f16_e32 v11, v11, v6
	v_fmac_f16_e32 v43, 0x38b4, v39
	v_add_f16_e32 v6, v44, v45
	v_fmac_f16_e32 v81, 0xb8b4, v39
	v_fmac_f16_e32 v89, 0x38b4, v41
	v_add_f16_e32 v4, v4, v5
	v_fmac_f16_e32 v91, 0xb8b4, v41
	v_fmac_f16_e32 v43, 0x34f2, v6
	v_fmac_f16_e32 v81, 0x34f2, v6
	v_pack_b32_f16 v6, v42, v83
	v_fmac_f16_e32 v89, 0x34f2, v4
	v_fmac_f16_e32 v91, 0x34f2, v4
	v_pack_b32_f16 v4, v38, v46
	v_add_f16_e32 v5, v11, v7
	v_pack_b32_f16 v7, v78, v87
	v_pack_b32_f16 v11, v35, v79
	;; [unrolled: 1-line block ×5, first 2 shown]
	s_barrier
	buffer_gl0_inv
	ds_write2_b32 v70, v4, v6 offset1:17
	ds_write2_b32 v70, v7, v11 offset0:34 offset1:51
	ds_write_b32 v70, v35 offset:272
	ds_write2_b32 v69, v12, v15 offset1:17
	v_pack_b32_f16 v4, v13, v82
	v_pack_b32_f16 v6, v36, v85
	v_pack_b32_f16 v7, v14, v92
	v_pack_b32_f16 v5, v8, v5
	v_pack_b32_f16 v8, v34, v43
	v_pack_b32_f16 v9, v9, v89
	v_pack_b32_f16 v11, v33, v91
	v_pack_b32_f16 v10, v10, v81
	ds_write2_b32 v69, v4, v6 offset0:34 offset1:51
	ds_write_b32 v69, v7 offset:272
	ds_write2_b32 v68, v5, v8 offset1:17
	ds_write2_b32 v68, v9, v11 offset0:34 offset1:51
	ds_write_b32 v68, v10 offset:272
	s_and_saveexec_b32 s0, vcc_lo
	s_cbranch_execz .LBB0_9
; %bb.8:
	v_mul_f16_sdwa v4, v0, v80 dst_sel:DWORD dst_unused:UNUSED_PAD src0_sel:WORD_1 src1_sel:DWORD
	v_mul_f16_sdwa v5, v3, v73 dst_sel:DWORD dst_unused:UNUSED_PAD src0_sel:WORD_1 src1_sel:DWORD
	;; [unrolled: 1-line block ×5, first 2 shown]
	v_fma_f16 v4, v0, v77, -v4
	v_fma_f16 v5, v3, v75, -v5
	v_mul_f16_sdwa v9, v2, v71 dst_sel:DWORD dst_unused:UNUSED_PAD src0_sel:WORD_1 src1_sel:DWORD
	v_fma_f16 v6, v1, v76, -v6
	v_fmac_f16_e32 v7, v1, v74
	v_fmac_f16_e32 v8, v2, v71
	v_add_f16_e32 v1, v4, v5
	v_mul_f16_sdwa v10, v0, v77 dst_sel:DWORD dst_unused:UNUSED_PAD src0_sel:WORD_1 src1_sel:DWORD
	v_mul_f16_sdwa v11, v3, v75 dst_sel:DWORD dst_unused:UNUSED_PAD src0_sel:WORD_1 src1_sel:DWORD
	v_fma_f16 v2, v2, v72, -v9
	v_sub_f16_e32 v9, v7, v8
	v_fma_f16 v1, -0.5, v1, v93
	v_fmac_f16_e32 v10, v0, v80
	v_fmac_f16_e32 v11, v3, v73
	v_sub_f16_e32 v0, v6, v4
	v_sub_f16_e32 v3, v2, v5
	v_add_f16_e32 v14, v6, v2
	v_fmamk_f16 v12, v9, 0x3b9c, v1
	v_sub_f16_e32 v13, v10, v11
	v_fmac_f16_e32 v1, 0xbb9c, v9
	v_add_f16_e32 v0, v0, v3
	v_fma_f16 v3, -0.5, v14, v93
	v_sub_f16_e32 v14, v4, v6
	v_sub_f16_e32 v15, v5, v2
	v_fmac_f16_e32 v12, 0xb8b4, v13
	v_fmac_f16_e32 v1, 0x38b4, v13
	v_fmamk_f16 v33, v13, 0xbb9c, v3
	v_fmac_f16_e32 v3, 0x3b9c, v13
	v_add_f16_e32 v14, v14, v15
	v_add_f16_e32 v15, v93, v4
	v_fmac_f16_e32 v12, 0x34f2, v0
	v_add_f16_e32 v13, v10, v11
	v_fmac_f16_e32 v1, 0x34f2, v0
	v_fmac_f16_e32 v33, 0xb8b4, v9
	v_add_f16_e32 v0, v15, v6
	v_fmac_f16_e32 v3, 0x38b4, v9
	v_fma_f16 v9, -0.5, v13, v86
	v_sub_f16_e32 v6, v6, v2
	v_sub_f16_e32 v13, v8, v11
	v_add_f16_e32 v0, v0, v2
	v_sub_f16_e32 v2, v7, v10
	v_add_f16_e32 v34, v7, v8
	v_sub_f16_e32 v4, v4, v5
	v_fmac_f16_e32 v33, 0x34f2, v14
	v_add_f16_e32 v0, v0, v5
	v_add_f16_e32 v2, v2, v13
	v_fma_f16 v5, -0.5, v34, v86
	v_add_f16_e32 v13, v86, v10
	v_fmamk_f16 v15, v6, 0xbb9c, v9
	v_fmac_f16_e32 v3, 0x34f2, v14
	v_fmac_f16_e32 v9, 0x3b9c, v6
	v_sub_f16_e32 v10, v10, v7
	v_sub_f16_e32 v14, v11, v8
	v_fmamk_f16 v34, v4, 0x3b9c, v5
	v_add_f16_e32 v7, v13, v7
	v_fmac_f16_e32 v5, 0xbb9c, v4
	v_fmac_f16_e32 v15, 0x38b4, v4
	;; [unrolled: 1-line block ×3, first 2 shown]
	v_add_f16_e32 v4, v10, v14
	v_add_f16_e32 v7, v7, v8
	v_fmac_f16_e32 v5, 0xb8b4, v6
	v_fmac_f16_e32 v34, 0x38b4, v6
	v_mad_u16 v6, 0x55, v66, v67
	v_mov_b32_e32 v8, 2
	v_add_f16_e32 v7, v7, v11
	v_fmac_f16_e32 v5, 0x34f2, v4
	v_fmac_f16_e32 v15, 0x34f2, v2
	;; [unrolled: 1-line block ×4, first 2 shown]
	v_lshlrev_b32_sdwa v2, v8, v6 dst_sel:DWORD dst_unused:UNUSED_PAD src0_sel:DWORD src1_sel:WORD_0
	v_pack_b32_f16 v0, v7, v0
	v_pack_b32_f16 v3, v5, v3
	v_pack_b32_f16 v1, v9, v1
	v_pack_b32_f16 v4, v15, v12
	v_pack_b32_f16 v5, v34, v33
	ds_write2_b32 v2, v0, v3 offset1:17
	ds_write2_b32 v2, v1, v4 offset0:34 offset1:51
	ds_write_b32 v2, v5 offset:272
.LBB0_9:
	s_or_b32 exec_lo, exec_lo, s0
	s_waitcnt lgkmcnt(0)
	s_barrier
	buffer_gl0_inv
	ds_read2_b32 v[34:35], v47 offset1:85
	ds_read2_b32 v[6:7], v47 offset0:170 offset1:255
	v_add_nc_u32_e32 v5, 0x400, v47
	v_add_nc_u32_e32 v4, 0x600, v47
	;; [unrolled: 1-line block ×5, first 2 shown]
	ds_read2_b32 v[8:9], v5 offset0:84 offset1:169
	ds_read2_b32 v[10:11], v4 offset0:126 offset1:211
	;; [unrolled: 1-line block ×4, first 2 shown]
	v_add_nc_u32_e32 v0, 0x1000, v47
	ds_read2_b32 v[38:39], v1 offset0:124 offset1:209
	ds_read2_b32 v[40:41], v0 offset0:166 offset1:251
	ds_read_b32 v42, v47 offset:5440
	s_mov_b32 s2, 0xda71079e
	s_mov_b32 s3, 0x3f46ad43
	s_waitcnt lgkmcnt(8)
	v_lshrrev_b32_e32 v12, 16, v35
	s_waitcnt lgkmcnt(7)
	v_lshrrev_b32_e32 v13, 16, v6
	v_lshrrev_b32_e32 v43, 16, v7
	v_mul_f16_sdwa v33, v28, v35 dst_sel:DWORD dst_unused:UNUSED_PAD src0_sel:WORD_1 src1_sel:DWORD
	v_mul_f16_sdwa v77, v29, v6 dst_sel:DWORD dst_unused:UNUSED_PAD src0_sel:WORD_1 src1_sel:DWORD
	;; [unrolled: 1-line block ×3, first 2 shown]
	s_waitcnt lgkmcnt(6)
	v_lshrrev_b32_e32 v44, 16, v8
	v_mul_f16_sdwa v78, v30, v43 dst_sel:DWORD dst_unused:UNUSED_PAD src0_sel:WORD_1 src1_sel:DWORD
	v_lshrrev_b32_e32 v45, 16, v9
	v_fmac_f16_e32 v73, v28, v35
	v_mul_f16_sdwa v35, v29, v13 dst_sel:DWORD dst_unused:UNUSED_PAD src0_sel:WORD_1 src1_sel:DWORD
	v_fma_f16 v79, v28, v12, -v33
	v_mul_f16_sdwa v12, v30, v7 dst_sel:DWORD dst_unused:UNUSED_PAD src0_sel:WORD_1 src1_sel:DWORD
	v_fmac_f16_e32 v78, v30, v7
	v_mul_f16_sdwa v33, v31, v44 dst_sel:DWORD dst_unused:UNUSED_PAD src0_sel:WORD_1 src1_sel:DWORD
	v_fmac_f16_e32 v35, v29, v6
	v_mul_f16_sdwa v6, v31, v8 dst_sel:DWORD dst_unused:UNUSED_PAD src0_sel:WORD_1 src1_sel:DWORD
	v_mul_f16_sdwa v7, v24, v9 dst_sel:DWORD dst_unused:UNUSED_PAD src0_sel:WORD_1 src1_sel:DWORD
	s_waitcnt lgkmcnt(5)
	v_lshrrev_b32_e32 v46, 16, v10
	v_fma_f16 v77, v29, v13, -v77
	v_fma_f16 v43, v30, v43, -v12
	v_mul_f16_sdwa v29, v24, v45 dst_sel:DWORD dst_unused:UNUSED_PAD src0_sel:WORD_1 src1_sel:DWORD
	v_fmac_f16_e32 v33, v31, v8
	v_fma_f16 v31, v31, v44, -v6
	v_fma_f16 v30, v24, v45, -v7
	v_mul_f16_sdwa v6, v25, v10 dst_sel:DWORD dst_unused:UNUSED_PAD src0_sel:WORD_1 src1_sel:DWORD
	v_add_f16_e32 v7, v34, v73
	v_fmac_f16_e32 v29, v24, v9
	v_lshrrev_b32_e32 v66, 16, v11
	v_mul_f16_sdwa v28, v25, v46 dst_sel:DWORD dst_unused:UNUSED_PAD src0_sel:WORD_1 src1_sel:DWORD
	v_fma_f16 v24, v25, v46, -v6
	v_add_f16_sdwa v6, v34, v79 dst_sel:DWORD dst_unused:UNUSED_PAD src0_sel:WORD_1 src1_sel:DWORD
	v_add_f16_e32 v7, v7, v35
	s_waitcnt lgkmcnt(4)
	v_lshrrev_b32_e32 v67, 16, v14
	v_fmac_f16_e32 v28, v25, v10
	v_mul_f16_sdwa v12, v26, v66 dst_sel:DWORD dst_unused:UNUSED_PAD src0_sel:WORD_1 src1_sel:DWORD
	v_add_f16_e32 v6, v6, v77
	v_add_f16_e32 v7, v7, v78
	v_mul_f16_sdwa v8, v26, v11 dst_sel:DWORD dst_unused:UNUSED_PAD src0_sel:WORD_1 src1_sel:DWORD
	v_lshrrev_b32_e32 v68, 16, v15
	v_fmac_f16_e32 v12, v26, v11
	v_add_f16_e32 v6, v6, v43
	v_add_f16_e32 v7, v7, v33
	v_fma_f16 v13, v26, v66, -v8
	v_mul_f16_sdwa v8, v27, v67 dst_sel:DWORD dst_unused:UNUSED_PAD src0_sel:WORD_1 src1_sel:DWORD
	s_waitcnt lgkmcnt(3)
	v_lshrrev_b32_e32 v69, 16, v36
	v_add_f16_e32 v6, v6, v31
	v_add_f16_e32 v7, v7, v29
	v_mul_f16_sdwa v10, v27, v14 dst_sel:DWORD dst_unused:UNUSED_PAD src0_sel:WORD_1 src1_sel:DWORD
	v_mul_f16_sdwa v9, v20, v68 dst_sel:DWORD dst_unused:UNUSED_PAD src0_sel:WORD_1 src1_sel:DWORD
	v_fmac_f16_e32 v8, v27, v14
	v_add_f16_e32 v6, v6, v30
	v_add_f16_e32 v7, v7, v28
	v_lshrrev_b32_e32 v70, 16, v37
	v_fma_f16 v10, v27, v67, -v10
	v_fmac_f16_e32 v9, v20, v15
	v_add_f16_e32 v6, v6, v24
	v_add_f16_e32 v7, v7, v12
	v_mul_f16_sdwa v11, v20, v15 dst_sel:DWORD dst_unused:UNUSED_PAD src0_sel:WORD_1 src1_sel:DWORD
	v_mul_f16_sdwa v14, v21, v69 dst_sel:DWORD dst_unused:UNUSED_PAD src0_sel:WORD_1 src1_sel:DWORD
	;; [unrolled: 1-line block ×3, first 2 shown]
	v_add_f16_e32 v6, v6, v13
	v_add_f16_e32 v7, v7, v8
	s_waitcnt lgkmcnt(2)
	v_lshrrev_b32_e32 v71, 16, v38
	v_lshrrev_b32_e32 v72, 16, v39
	v_fma_f16 v11, v20, v68, -v11
	v_fmac_f16_e32 v14, v21, v36
	v_fma_f16 v15, v21, v69, -v15
	v_mul_f16_sdwa v20, v22, v70 dst_sel:DWORD dst_unused:UNUSED_PAD src0_sel:WORD_1 src1_sel:DWORD
	v_mul_f16_sdwa v21, v22, v37 dst_sel:DWORD dst_unused:UNUSED_PAD src0_sel:WORD_1 src1_sel:DWORD
	v_add_f16_e32 v6, v6, v10
	v_add_f16_e32 v7, v7, v9
	s_waitcnt lgkmcnt(1)
	v_lshrrev_b32_e32 v74, 16, v40
	v_mul_f16_sdwa v25, v23, v71 dst_sel:DWORD dst_unused:UNUSED_PAD src0_sel:WORD_1 src1_sel:DWORD
	v_fmac_f16_e32 v20, v22, v37
	v_fma_f16 v21, v22, v70, -v21
	v_mul_f16_sdwa v22, v23, v38 dst_sel:DWORD dst_unused:UNUSED_PAD src0_sel:WORD_1 src1_sel:DWORD
	v_mul_f16_sdwa v26, v16, v72 dst_sel:DWORD dst_unused:UNUSED_PAD src0_sel:WORD_1 src1_sel:DWORD
	;; [unrolled: 1-line block ×3, first 2 shown]
	v_add_f16_e32 v6, v6, v11
	v_add_f16_e32 v7, v7, v14
	v_fmac_f16_e32 v25, v23, v38
	v_fma_f16 v22, v23, v71, -v22
	v_fmac_f16_e32 v26, v16, v39
	v_fma_f16 v16, v16, v72, -v27
	v_mul_f16_sdwa v23, v17, v74 dst_sel:DWORD dst_unused:UNUSED_PAD src0_sel:WORD_1 src1_sel:DWORD
	v_add_f16_e32 v6, v6, v15
	v_add_f16_e32 v7, v7, v20
	v_mul_f16_sdwa v27, v17, v40 dst_sel:DWORD dst_unused:UNUSED_PAD src0_sel:WORD_1 src1_sel:DWORD
	v_lshrrev_b32_e32 v75, 16, v41
	s_waitcnt lgkmcnt(0)
	v_lshrrev_b32_e32 v76, 16, v42
	v_fmac_f16_e32 v23, v17, v40
	v_add_f16_e32 v6, v6, v21
	v_add_f16_e32 v7, v7, v25
	v_fma_f16 v17, v17, v74, -v27
	v_mul_f16_sdwa v27, v19, v42 dst_sel:DWORD dst_unused:UNUSED_PAD src0_sel:WORD_1 src1_sel:DWORD
	v_mul_f16_sdwa v36, v18, v75 dst_sel:DWORD dst_unused:UNUSED_PAD src0_sel:WORD_1 src1_sel:DWORD
	v_add_f16_e32 v6, v6, v22
	v_add_f16_e32 v7, v7, v26
	v_mul_f16_sdwa v37, v18, v41 dst_sel:DWORD dst_unused:UNUSED_PAD src0_sel:WORD_1 src1_sel:DWORD
	v_mul_f16_sdwa v38, v19, v76 dst_sel:DWORD dst_unused:UNUSED_PAD src0_sel:WORD_1 src1_sel:DWORD
	v_fma_f16 v27, v19, v76, -v27
	v_fmac_f16_e32 v36, v18, v41
	v_add_f16_e32 v6, v6, v16
	v_add_f16_e32 v7, v7, v23
	v_fma_f16 v18, v18, v75, -v37
	v_fmac_f16_e32 v38, v19, v42
	v_sub_f16_e32 v19, v79, v27
	v_add_f16_e32 v6, v6, v17
	v_add_f16_e32 v7, v7, v36
	;; [unrolled: 1-line block ×4, first 2 shown]
	v_mul_f16_e32 v40, 0xb5c8, v19
	v_sub_f16_e32 v90, v77, v18
	v_add_f16_e32 v41, v6, v18
	v_sub_f16_e32 v42, v73, v38
	v_mul_f16_e32 v44, 0x3b76, v37
	v_fmamk_f16 v45, v39, 0x3b76, v40
	v_add_f16_e32 v6, v7, v38
	v_mul_f16_e32 v38, 0xb964, v19
	v_mul_f16_e32 v46, 0x39e9, v37
	v_mul_f16_e32 v66, 0xbb29, v19
	v_mul_f16_e32 v69, 0x3722, v37
	v_mul_f16_e32 v71, 0xbbf7, v19
	v_mul_f16_e32 v72, 0x2de8, v37
	v_mul_f16_e32 v75, 0xbbb2, v19
	v_mul_f16_e32 v79, 0xb461, v37
	v_mul_f16_e32 v80, 0xba62, v19
	v_mul_f16_e32 v83, 0xb8d2, v37
	v_mul_f16_e32 v85, 0xb836, v19
	v_mul_f16_e32 v86, 0xbacd, v37
	v_mul_f16_e32 v19, 0xb1e1, v19
	v_mul_f16_e32 v37, 0xbbdd, v37
	v_add_f16_e32 v92, v35, v36
	v_mul_f16_e32 v93, 0xb964, v90
	v_add_f16_e32 v18, v77, v18
	v_add_f16_e32 v7, v41, v27
	v_fmamk_f16 v27, v42, 0x35c8, v44
	v_add_f16_e32 v41, v34, v45
	v_fma_f16 v40, v39, 0x3b76, -v40
	v_fmac_f16_e32 v44, 0xb5c8, v42
	v_fmamk_f16 v45, v39, 0x39e9, v38
	v_fmamk_f16 v67, v42, 0x3964, v46
	v_fma_f16 v38, v39, 0x39e9, -v38
	v_fmac_f16_e32 v46, 0xb964, v42
	v_fmamk_f16 v68, v39, 0x3722, v66
	v_fmamk_f16 v70, v42, 0x3b29, v69
	;; [unrolled: 4-line block ×7, first 2 shown]
	v_fma_f16 v19, v39, 0xbbdd, -v19
	v_fmac_f16_e32 v37, 0xb1e1, v42
	v_sub_f16_e32 v35, v35, v36
	v_fmamk_f16 v36, v92, 0x39e9, v93
	v_mul_f16_e32 v39, 0x39e9, v18
	v_add_f16_sdwa v27, v34, v27 dst_sel:DWORD dst_unused:UNUSED_PAD src0_sel:WORD_1 src1_sel:DWORD
	v_add_f16_e32 v40, v34, v40
	v_add_f16_sdwa v44, v34, v44 dst_sel:DWORD dst_unused:UNUSED_PAD src0_sel:WORD_1 src1_sel:DWORD
	v_add_f16_e32 v45, v34, v45
	;; [unrolled: 2-line block ×16, first 2 shown]
	v_fmamk_f16 v37, v35, 0x3964, v39
	v_mul_f16_e32 v41, 0xbbf7, v90
	v_fma_f16 v77, v92, 0x39e9, -v93
	v_fmac_f16_e32 v39, 0xb964, v35
	v_mul_f16_e32 v91, 0x2de8, v18
	v_add_f16_e32 v27, v37, v27
	v_fmamk_f16 v37, v92, 0x2de8, v41
	v_add_f16_e32 v40, v77, v40
	v_add_f16_e32 v39, v39, v44
	v_fmamk_f16 v44, v35, 0x3bf7, v91
	v_mul_f16_e32 v77, 0xba62, v90
	v_add_f16_e32 v37, v37, v45
	v_fma_f16 v41, v92, 0x2de8, -v41
	v_fmac_f16_e32 v91, 0xbbf7, v35
	v_add_f16_e32 v44, v44, v67
	v_fmamk_f16 v45, v92, 0xb8d2, v77
	v_mul_f16_e32 v67, 0xb8d2, v18
	v_add_f16_e32 v38, v41, v38
	v_add_f16_e32 v41, v91, v46
	v_mul_f16_e32 v46, 0xb1e1, v90
	v_add_f16_e32 v45, v45, v68
	v_fmamk_f16 v68, v35, 0x3a62, v67
	v_fma_f16 v77, v92, 0xb8d2, -v77
	v_mul_f16_e32 v93, 0xbbdd, v18
	v_fmac_f16_e32 v67, 0xba62, v35
	v_fmamk_f16 v91, v92, 0xbbdd, v46
	v_add_f16_e32 v68, v68, v70
	v_add_f16_e32 v66, v77, v66
	v_fmamk_f16 v70, v35, 0x31e1, v93
	v_fma_f16 v46, v92, 0xbbdd, -v46
	v_fmac_f16_e32 v93, 0xb1e1, v35
	v_mul_f16_e32 v77, 0xbacd, v18
	v_add_f16_e32 v67, v67, v69
	v_add_f16_e32 v69, v91, v73
	v_mul_f16_e32 v73, 0x3836, v90
	v_add_f16_e32 v46, v46, v71
	v_add_f16_e32 v71, v93, v72
	v_fmamk_f16 v72, v35, 0xb836, v77
	v_add_f16_e32 v70, v70, v74
	v_fmamk_f16 v74, v92, 0xbacd, v73
	v_mul_f16_e32 v91, 0x3bb2, v90
	v_fma_f16 v73, v92, 0xbacd, -v73
	v_fmac_f16_e32 v77, 0x3836, v35
	v_add_f16_e32 v72, v72, v81
	v_mul_f16_e32 v81, 0xb461, v18
	v_add_f16_e32 v74, v74, v76
	v_fmamk_f16 v76, v92, 0xb461, v91
	v_add_f16_e32 v73, v73, v75
	v_add_f16_e32 v75, v77, v79
	v_mul_f16_e32 v77, 0x3b29, v90
	v_fmamk_f16 v79, v35, 0xbbb2, v81
	v_fmac_f16_e32 v81, 0x3bb2, v35
	v_mul_f16_e32 v93, 0x3722, v18
	v_add_f16_e32 v76, v76, v82
	v_fma_f16 v82, v92, 0xb461, -v91
	v_fmamk_f16 v91, v92, 0x3722, v77
	v_add_f16_e32 v81, v81, v83
	v_fmamk_f16 v83, v35, 0xbb29, v93
	v_mul_f16_e32 v18, 0x3b76, v18
	v_fma_f16 v77, v92, 0x3722, -v77
	v_fmac_f16_e32 v93, 0x3b29, v35
	v_add_f16_e32 v79, v79, v84
	v_mul_f16_e32 v84, 0x35c8, v90
	v_add_f16_e32 v83, v83, v88
	v_fmamk_f16 v88, v35, 0xb5c8, v18
	v_add_f16_e32 v77, v77, v85
	v_add_f16_e32 v85, v93, v86
	v_sub_f16_e32 v86, v43, v17
	v_add_f16_e32 v17, v43, v17
	v_add_f16_e32 v80, v82, v80
	;; [unrolled: 1-line block ×3, first 2 shown]
	v_fmamk_f16 v87, v92, 0x3b76, v84
	v_add_f16_e32 v42, v88, v42
	v_add_f16_e32 v88, v78, v23
	v_mul_f16_e32 v43, 0xbb29, v86
	v_fma_f16 v84, v92, 0x3b76, -v84
	v_fmac_f16_e32 v18, 0x35c8, v35
	v_sub_f16_e32 v23, v78, v23
	v_mul_f16_e32 v35, 0x3722, v17
	v_fmamk_f16 v78, v88, 0x3722, v43
	v_add_f16_e32 v19, v84, v19
	v_add_f16_e32 v18, v18, v34
	v_mul_f16_e32 v34, 0xba62, v86
	v_fmamk_f16 v84, v23, 0x3b29, v35
	v_add_f16_e32 v36, v78, v36
	v_fma_f16 v43, v88, 0x3722, -v43
	v_fmac_f16_e32 v35, 0xbb29, v23
	v_fmamk_f16 v78, v88, 0xb8d2, v34
	v_add_f16_e32 v27, v84, v27
	v_mul_f16_e32 v84, 0xb8d2, v17
	v_add_f16_e32 v40, v43, v40
	v_add_f16_e32 v35, v35, v39
	;; [unrolled: 1-line block ×3, first 2 shown]
	v_mul_f16_e32 v39, 0x31e1, v86
	v_fmamk_f16 v43, v23, 0x3a62, v84
	v_fma_f16 v34, v88, 0xb8d2, -v34
	v_fmac_f16_e32 v84, 0xba62, v23
	v_mul_f16_e32 v78, 0xbbdd, v17
	v_add_f16_e32 v87, v87, v89
	v_fmamk_f16 v89, v88, 0xbbdd, v39
	v_add_f16_e32 v34, v34, v38
	v_add_f16_e32 v38, v84, v41
	v_fmamk_f16 v41, v23, 0xb1e1, v78
	v_add_f16_e32 v43, v43, v44
	v_add_f16_e32 v44, v89, v45
	v_mul_f16_e32 v45, 0x3bb2, v86
	v_fma_f16 v39, v88, 0xbbdd, -v39
	v_fmac_f16_e32 v78, 0x31e1, v23
	v_add_f16_e32 v41, v41, v68
	v_mul_f16_e32 v68, 0xb461, v17
	v_fmamk_f16 v84, v88, 0xb461, v45
	v_add_f16_e32 v39, v39, v66
	v_add_f16_e32 v66, v78, v67
	v_mul_f16_e32 v67, 0x3964, v86
	v_fmamk_f16 v78, v23, 0xbbb2, v68
	v_fma_f16 v45, v88, 0xb461, -v45
	v_fmac_f16_e32 v68, 0x3bb2, v23
	v_add_f16_e32 v69, v84, v69
	v_fmamk_f16 v84, v88, 0x39e9, v67
	v_add_f16_e32 v70, v78, v70
	v_mul_f16_e32 v78, 0x39e9, v17
	v_add_f16_e32 v45, v45, v46
	v_add_f16_e32 v46, v68, v71
	v_mul_f16_e32 v71, 0xb5c8, v86
	v_add_f16_e32 v68, v84, v74
	v_fmamk_f16 v74, v23, 0xb964, v78
	v_fma_f16 v67, v88, 0x39e9, -v67
	v_fmac_f16_e32 v78, 0x3964, v23
	v_mul_f16_e32 v84, 0x3b76, v17
	v_fmamk_f16 v89, v88, 0x3b76, v71
	v_add_f16_e32 v72, v74, v72
	v_add_f16_e32 v67, v67, v73
	;; [unrolled: 1-line block ×3, first 2 shown]
	v_fmamk_f16 v74, v23, 0x35c8, v84
	v_add_f16_e32 v75, v89, v76
	v_mul_f16_e32 v76, 0xbbf7, v86
	v_fma_f16 v71, v88, 0x3b76, -v71
	v_fmac_f16_e32 v84, 0xb5c8, v23
	v_add_f16_e32 v74, v74, v79
	v_mul_f16_e32 v78, 0x2de8, v17
	v_fmamk_f16 v79, v88, 0x2de8, v76
	v_add_f16_e32 v71, v71, v80
	v_add_f16_e32 v80, v84, v81
	v_mul_f16_e32 v81, 0xb836, v86
	v_fmamk_f16 v84, v23, 0x3bf7, v78
	v_add_f16_e32 v79, v79, v82
	v_fma_f16 v76, v88, 0x2de8, -v76
	v_fmac_f16_e32 v78, 0xbbf7, v23
	v_fmamk_f16 v82, v88, 0xbacd, v81
	v_mul_f16_e32 v17, 0xbacd, v17
	v_add_f16_e32 v83, v84, v83
	v_add_f16_e32 v76, v76, v77
	;; [unrolled: 1-line block ×4, first 2 shown]
	v_sub_f16_e32 v82, v31, v16
	v_add_f16_e32 v16, v31, v16
	v_fmamk_f16 v84, v23, 0x3836, v17
	v_fma_f16 v81, v88, 0xbacd, -v81
	v_add_f16_e32 v31, v33, v26
	v_mul_f16_e32 v85, 0xbbf7, v82
	v_fmac_f16_e32 v17, 0xb836, v23
	v_sub_f16_e32 v23, v33, v26
	v_mul_f16_e32 v26, 0x2de8, v16
	v_add_f16_e32 v33, v84, v42
	v_fmamk_f16 v42, v31, 0x2de8, v85
	v_add_f16_e32 v19, v81, v19
	v_add_f16_e32 v17, v17, v18
	v_fmamk_f16 v18, v23, 0x3bf7, v26
	v_mul_f16_e32 v81, 0xb1e1, v82
	v_fmac_f16_e32 v26, 0xbbf7, v23
	v_add_f16_e32 v36, v42, v36
	v_fma_f16 v42, v31, 0x2de8, -v85
	v_add_f16_e32 v18, v18, v27
	v_fmamk_f16 v27, v31, 0xbbdd, v81
	v_mul_f16_e32 v84, 0xbbdd, v16
	v_add_f16_e32 v26, v26, v35
	v_mul_f16_e32 v35, 0x3bb2, v82
	v_add_f16_e32 v40, v42, v40
	v_add_f16_e32 v27, v27, v37
	v_fmamk_f16 v37, v23, 0x31e1, v84
	v_fma_f16 v42, v31, 0xbbdd, -v81
	v_fmamk_f16 v81, v31, 0xb461, v35
	v_mul_f16_e32 v85, 0xb461, v16
	v_fmac_f16_e32 v84, 0xb1e1, v23
	v_add_f16_e32 v37, v37, v43
	v_add_f16_e32 v34, v42, v34
	;; [unrolled: 1-line block ×3, first 2 shown]
	v_fmamk_f16 v43, v23, 0xbbb2, v85
	v_mul_f16_e32 v44, 0x35c8, v82
	v_fma_f16 v35, v31, 0xb461, -v35
	v_fmac_f16_e32 v85, 0x3bb2, v23
	v_mul_f16_e32 v81, 0x3b76, v16
	v_add_f16_e32 v38, v84, v38
	v_add_f16_e32 v41, v43, v41
	v_fmamk_f16 v43, v31, 0x3b76, v44
	v_add_f16_e32 v35, v35, v39
	v_add_f16_e32 v39, v85, v66
	v_fmamk_f16 v66, v23, 0xb5c8, v81
	v_mul_f16_e32 v84, 0xbb29, v82
	v_fma_f16 v44, v31, 0x3b76, -v44
	v_fmac_f16_e32 v81, 0x35c8, v23
	v_add_f16_e32 v43, v43, v69
	v_add_f16_e32 v66, v66, v70
	v_fmamk_f16 v69, v31, 0x3722, v84
	v_mul_f16_e32 v70, 0x3722, v16
	v_add_f16_e32 v44, v44, v45
	v_add_f16_e32 v45, v81, v46
	v_mul_f16_e32 v46, 0xb836, v82
	v_add_f16_e32 v68, v69, v68
	v_fmamk_f16 v69, v23, 0x3b29, v70
	v_fma_f16 v81, v31, 0x3722, -v84
	v_fmac_f16_e32 v70, 0xbb29, v23
	v_fmamk_f16 v84, v31, 0xbacd, v46
	v_mul_f16_e32 v85, 0xbacd, v16
	v_add_f16_e32 v69, v69, v72
	v_add_f16_e32 v67, v81, v67
	;; [unrolled: 1-line block ×4, first 2 shown]
	v_fmamk_f16 v73, v23, 0x3836, v85
	v_mul_f16_e32 v75, 0x3a62, v82
	v_fma_f16 v46, v31, 0xbacd, -v46
	v_mul_f16_e32 v81, 0xb8d2, v16
	v_mul_f16_e32 v82, 0x3964, v82
	v_add_f16_e32 v73, v73, v74
	v_fmamk_f16 v74, v31, 0xb8d2, v75
	v_fma_f16 v75, v31, 0xb8d2, -v75
	v_add_f16_e32 v46, v46, v71
	v_fmamk_f16 v71, v23, 0xba62, v81
	v_fmac_f16_e32 v81, 0x3a62, v23
	v_add_f16_e32 v74, v74, v79
	v_add_f16_e32 v75, v75, v76
	v_sub_f16_e32 v76, v30, v22
	v_add_f16_e32 v71, v71, v83
	v_fmamk_f16 v79, v31, 0x39e9, v82
	v_mul_f16_e32 v16, 0x39e9, v16
	v_add_f16_e32 v77, v81, v77
	v_add_f16_e32 v81, v29, v25
	v_mul_f16_e32 v83, 0xbbb2, v76
	v_add_f16_e32 v22, v30, v22
	v_fmac_f16_e32 v85, 0xb836, v23
	v_add_f16_e32 v78, v79, v78
	v_fmamk_f16 v79, v23, 0xb964, v16
	v_fma_f16 v30, v31, 0x39e9, -v82
	v_fmac_f16_e32 v16, 0x3964, v23
	v_sub_f16_e32 v23, v29, v25
	v_fmamk_f16 v25, v81, 0xb461, v83
	v_mul_f16_e32 v29, 0xb461, v22
	v_add_f16_e32 v19, v30, v19
	v_add_f16_e32 v16, v16, v17
	v_mul_f16_e32 v30, 0x3836, v76
	v_add_f16_e32 v17, v25, v36
	v_fmamk_f16 v25, v23, 0x3bb2, v29
	v_add_f16_e32 v31, v79, v33
	v_fma_f16 v33, v81, 0xb461, -v83
	v_fmac_f16_e32 v29, 0xbbb2, v23
	v_mul_f16_e32 v36, 0xbacd, v22
	v_add_f16_e32 v18, v25, v18
	v_fmamk_f16 v25, v81, 0xbacd, v30
	v_add_f16_e32 v33, v33, v40
	v_add_f16_e32 v26, v29, v26
	v_fmamk_f16 v29, v23, 0xb836, v36
	v_mul_f16_e32 v40, 0x3964, v76
	v_add_f16_e32 v25, v25, v27
	v_fma_f16 v27, v81, 0xbacd, -v30
	v_fmac_f16_e32 v36, 0x3836, v23
	v_add_f16_e32 v29, v29, v37
	v_fmamk_f16 v30, v81, 0x39e9, v40
	v_mul_f16_e32 v37, 0x39e9, v22
	v_add_f16_e32 v27, v27, v34
	v_add_f16_e32 v34, v36, v38
	v_mul_f16_e32 v36, 0xbb29, v76
	v_add_f16_e32 v30, v30, v42
	v_fmamk_f16 v38, v23, 0xb964, v37
	v_fma_f16 v40, v81, 0x39e9, -v40
	v_fmac_f16_e32 v37, 0x3964, v23
	v_fmamk_f16 v42, v81, 0x3722, v36
	v_mul_f16_e32 v79, 0x3722, v22
	v_add_f16_e32 v38, v38, v41
	v_add_f16_e32 v35, v40, v35
	;; [unrolled: 1-line block ×4, first 2 shown]
	v_fmamk_f16 v40, v23, 0x3b29, v79
	v_mul_f16_e32 v41, 0xb1e1, v76
	v_fma_f16 v36, v81, 0x3722, -v36
	v_fmac_f16_e32 v79, 0xbb29, v23
	v_mul_f16_e32 v42, 0xbbdd, v22
	v_add_f16_e32 v40, v40, v66
	v_fmamk_f16 v43, v81, 0xbbdd, v41
	v_add_f16_e32 v36, v36, v44
	v_add_f16_e32 v44, v79, v45
	v_fmamk_f16 v45, v23, 0x31e1, v42
	v_mul_f16_e32 v66, 0x3bf7, v76
	v_fma_f16 v41, v81, 0xbbdd, -v41
	v_add_f16_e32 v43, v43, v68
	v_fmac_f16_e32 v42, 0xb1e1, v23
	v_add_f16_e32 v45, v45, v69
	v_fmamk_f16 v68, v81, 0x2de8, v66
	v_mul_f16_e32 v69, 0x2de8, v22
	v_add_f16_e32 v41, v41, v67
	v_mul_f16_e32 v67, 0xb5c8, v76
	v_add_f16_e32 v80, v85, v80
	v_add_f16_e32 v42, v42, v70
	;; [unrolled: 1-line block ×3, first 2 shown]
	v_fmamk_f16 v70, v23, 0xbbf7, v69
	v_fma_f16 v66, v81, 0x2de8, -v66
	v_fmac_f16_e32 v69, 0x3bf7, v23
	v_fmamk_f16 v72, v81, 0x3b76, v67
	v_mul_f16_e32 v79, 0x3b76, v22
	v_mul_f16_e32 v22, 0xb8d2, v22
	v_add_f16_e32 v70, v70, v73
	v_add_f16_e32 v46, v66, v46
	;; [unrolled: 1-line block ×4, first 2 shown]
	v_fmamk_f16 v72, v23, 0x35c8, v79
	v_mul_f16_e32 v73, 0xba62, v76
	v_fmamk_f16 v74, v23, 0x3a62, v22
	v_sub_f16_e32 v76, v24, v21
	v_add_f16_e32 v21, v24, v21
	v_fmac_f16_e32 v79, 0xb5c8, v23
	v_add_f16_e32 v71, v72, v71
	v_fmamk_f16 v72, v81, 0xb8d2, v73
	v_add_f16_e32 v31, v74, v31
	v_add_f16_e32 v74, v28, v20
	v_mul_f16_e32 v24, 0xba62, v76
	v_fma_f16 v73, v81, 0xb8d2, -v73
	v_fmac_f16_e32 v22, 0xba62, v23
	v_sub_f16_e32 v20, v28, v20
	v_mul_f16_e32 v23, 0xb8d2, v21
	v_fmamk_f16 v28, v74, 0xb8d2, v24
	v_add_f16_e32 v19, v73, v19
	v_add_f16_e32 v16, v22, v16
	v_mul_f16_e32 v22, 0x3bb2, v76
	v_fmamk_f16 v73, v20, 0x3a62, v23
	v_add_f16_e32 v17, v28, v17
	v_fma_f16 v24, v74, 0xb8d2, -v24
	v_fmac_f16_e32 v23, 0xba62, v20
	v_fmamk_f16 v28, v74, 0xb461, v22
	v_add_f16_e32 v18, v73, v18
	v_mul_f16_e32 v73, 0xb461, v21
	v_add_f16_e32 v24, v24, v33
	v_mul_f16_e32 v33, 0x3b76, v21
	v_add_f16_e32 v25, v28, v25
	v_fma_f16 v67, v81, 0x3b76, -v67
	v_fmamk_f16 v28, v20, 0xbbb2, v73
	v_add_f16_e32 v23, v23, v26
	v_mul_f16_e32 v26, 0xb5c8, v76
	v_fma_f16 v22, v74, 0xb461, -v22
	v_fmac_f16_e32 v73, 0x3bb2, v20
	v_add_f16_e32 v28, v28, v29
	v_fmamk_f16 v29, v20, 0x35c8, v33
	v_add_f16_e32 v67, v67, v75
	v_add_f16_e32 v75, v79, v77
	v_fmamk_f16 v77, v74, 0x3b76, v26
	v_add_f16_e32 v22, v22, v27
	v_add_f16_e32 v27, v73, v34
	v_mul_f16_e32 v34, 0xb836, v76
	v_fma_f16 v26, v74, 0x3b76, -v26
	v_fmac_f16_e32 v33, 0xb5c8, v20
	v_add_f16_e32 v29, v29, v38
	v_mul_f16_e32 v38, 0xbacd, v21
	v_fmamk_f16 v73, v74, 0xbacd, v34
	v_add_f16_e32 v26, v26, v35
	v_add_f16_e32 v33, v33, v37
	v_mul_f16_e32 v35, 0x3bf7, v76
	v_fmamk_f16 v37, v20, 0x3836, v38
	v_add_f16_e32 v39, v73, v39
	v_fma_f16 v34, v74, 0xbacd, -v34
	v_fmac_f16_e32 v38, 0xb836, v20
	v_fmamk_f16 v73, v74, 0x2de8, v35
	v_add_f16_e32 v37, v37, v40
	v_mul_f16_e32 v40, 0x2de8, v21
	v_add_f16_e32 v34, v34, v36
	v_add_f16_e32 v36, v38, v44
	;; [unrolled: 1-line block ×3, first 2 shown]
	v_mul_f16_e32 v43, 0xb964, v76
	v_fmamk_f16 v44, v20, 0xbbf7, v40
	v_fma_f16 v35, v74, 0x2de8, -v35
	v_mul_f16_e32 v73, 0x39e9, v21
	v_add_f16_e32 v30, v77, v30
	v_fmac_f16_e32 v40, 0x3bf7, v20
	v_fmamk_f16 v77, v74, 0x39e9, v43
	v_add_f16_e32 v44, v44, v45
	v_add_f16_e32 v35, v35, v41
	v_fmamk_f16 v41, v20, 0x3964, v73
	v_mul_f16_e32 v45, 0xb1e1, v76
	v_fma_f16 v43, v74, 0x39e9, -v43
	v_fmac_f16_e32 v73, 0xb964, v20
	v_add_f16_e32 v40, v40, v42
	v_add_f16_e32 v42, v77, v68
	;; [unrolled: 1-line block ×3, first 2 shown]
	v_mul_f16_e32 v68, 0xbbdd, v21
	v_fmamk_f16 v70, v74, 0xbbdd, v45
	v_add_f16_e32 v43, v43, v46
	v_add_f16_e32 v46, v73, v66
	v_mul_f16_e32 v66, 0x3b29, v76
	v_add_f16_e32 v72, v72, v78
	v_fmamk_f16 v73, v20, 0x31e1, v68
	v_add_f16_e32 v69, v70, v69
	v_fma_f16 v45, v74, 0xbbdd, -v45
	v_fmac_f16_e32 v68, 0xb1e1, v20
	v_fmamk_f16 v70, v74, 0x3722, v66
	v_mul_f16_e32 v21, 0x3722, v21
	v_add_f16_e32 v71, v73, v71
	v_add_f16_e32 v45, v45, v67
	;; [unrolled: 1-line block ×4, first 2 shown]
	v_sub_f16_e32 v70, v13, v15
	v_add_f16_e32 v13, v13, v15
	v_fmamk_f16 v72, v20, 0xbb29, v21
	v_fma_f16 v66, v74, 0x3722, -v66
	v_add_f16_e32 v15, v12, v14
	v_mul_f16_e32 v73, 0xb836, v70
	v_fmac_f16_e32 v21, 0x3b29, v20
	v_sub_f16_e32 v12, v12, v14
	v_mul_f16_e32 v14, 0xbacd, v13
	v_add_f16_e32 v20, v72, v31
	v_fmamk_f16 v31, v15, 0xbacd, v73
	v_add_f16_e32 v19, v66, v19
	v_add_f16_e32 v16, v21, v16
	v_fmamk_f16 v21, v12, 0x3836, v14
	v_mul_f16_e32 v66, 0x3b29, v70
	v_fmac_f16_e32 v14, 0xb836, v12
	v_add_f16_e32 v17, v31, v17
	v_fma_f16 v31, v15, 0xbacd, -v73
	v_add_f16_e32 v18, v21, v18
	v_fmamk_f16 v21, v15, 0x3722, v66
	v_mul_f16_e32 v72, 0x3722, v13
	v_add_f16_e32 v14, v14, v23
	v_mul_f16_e32 v23, 0xbbf7, v70
	v_add_f16_e32 v24, v31, v24
	v_add_f16_e32 v21, v21, v25
	v_fmamk_f16 v25, v12, 0xbb29, v72
	v_fma_f16 v31, v15, 0x3722, -v66
	v_fmamk_f16 v66, v15, 0x2de8, v23
	v_mul_f16_e32 v73, 0x2de8, v13
	v_fmac_f16_e32 v72, 0x3b29, v12
	v_add_f16_e32 v25, v25, v28
	v_add_f16_e32 v22, v31, v22
	;; [unrolled: 1-line block ×3, first 2 shown]
	v_fmamk_f16 v30, v12, 0x3bf7, v73
	v_mul_f16_e32 v31, 0x3a62, v70
	v_fma_f16 v23, v15, 0x2de8, -v23
	v_fmac_f16_e32 v73, 0xbbf7, v12
	v_mul_f16_e32 v66, 0xb8d2, v13
	v_add_f16_e32 v27, v72, v27
	v_add_f16_e32 v29, v30, v29
	v_fmamk_f16 v30, v15, 0xb8d2, v31
	v_add_f16_e32 v23, v23, v26
	v_add_f16_e32 v26, v73, v33
	v_fmamk_f16 v33, v12, 0xba62, v66
	v_mul_f16_e32 v72, 0xb5c8, v70
	v_fma_f16 v31, v15, 0xb8d2, -v31
	v_fmac_f16_e32 v66, 0x3a62, v12
	v_add_f16_e32 v30, v30, v39
	v_add_f16_e32 v33, v33, v37
	v_fmamk_f16 v37, v15, 0x3b76, v72
	v_mul_f16_e32 v39, 0x3b76, v13
	v_add_f16_e32 v31, v31, v34
	v_add_f16_e32 v34, v66, v36
	v_mul_f16_e32 v36, 0xb1e1, v70
	v_add_f16_e32 v37, v37, v38
	v_fmamk_f16 v38, v12, 0x35c8, v39
	v_fma_f16 v66, v15, 0x3b76, -v72
	v_fmac_f16_e32 v39, 0xb5c8, v12
	v_fmamk_f16 v72, v15, 0xbbdd, v36
	v_mul_f16_e32 v73, 0xbbdd, v13
	v_add_f16_e32 v38, v38, v44
	v_add_f16_e32 v35, v66, v35
	;; [unrolled: 1-line block ×4, first 2 shown]
	v_fmamk_f16 v42, v12, 0x31e1, v73
	v_mul_f16_e32 v44, 0x3964, v70
	v_fma_f16 v36, v15, 0xbbdd, -v36
	v_fmac_f16_e32 v73, 0xb1e1, v12
	v_mul_f16_e32 v66, 0x39e9, v13
	v_add_f16_e32 v41, v42, v41
	v_fmamk_f16 v42, v15, 0x39e9, v44
	v_add_f16_e32 v36, v36, v43
	v_add_f16_e32 v43, v73, v46
	v_fmamk_f16 v46, v12, 0xb964, v66
	v_mul_f16_e32 v70, 0xbbb2, v70
	v_fma_f16 v44, v15, 0x39e9, -v44
	v_fmac_f16_e32 v66, 0x3964, v12
	v_add_f16_e32 v42, v42, v69
	v_mul_f16_e32 v13, 0xb461, v13
	v_fmamk_f16 v69, v15, 0xb461, v70
	v_add_f16_e32 v44, v44, v45
	v_add_f16_e32 v45, v66, v67
	v_sub_f16_e32 v66, v10, v11
	v_add_f16_e32 v10, v10, v11
	v_add_f16_e32 v67, v69, v68
	v_fmamk_f16 v68, v12, 0x3bb2, v13
	v_add_f16_e32 v69, v8, v9
	v_mul_f16_e32 v11, 0xb1e1, v66
	v_fmac_f16_e32 v13, 0xbbb2, v12
	v_sub_f16_e32 v8, v8, v9
	v_mul_f16_e32 v9, 0xbbdd, v10
	v_fma_f16 v15, v15, 0xb461, -v70
	v_fmamk_f16 v12, v69, 0xbbdd, v11
	v_add_f16_e32 v13, v13, v16
	v_fma_f16 v11, v69, 0xbbdd, -v11
	v_fmamk_f16 v16, v8, 0x31e1, v9
	v_fmac_f16_e32 v9, 0xb1e1, v8
	v_add_f16_e32 v12, v12, v17
	v_mul_f16_e32 v17, 0x35c8, v66
	v_add_f16_e32 v15, v15, v19
	v_add_f16_e32 v16, v16, v18
	v_mul_f16_e32 v18, 0x3b76, v10
	v_add_f16_e32 v11, v11, v24
	v_fmamk_f16 v19, v69, 0x3b76, v17
	v_add_f16_e32 v9, v9, v14
	v_mul_f16_e32 v14, 0xb836, v66
	v_fmamk_f16 v24, v8, 0xb5c8, v18
	v_fma_f16 v17, v69, 0x3b76, -v17
	v_add_f16_e32 v19, v19, v21
	v_fmac_f16_e32 v18, 0x35c8, v8
	v_fmamk_f16 v21, v69, 0xbacd, v14
	v_add_f16_e32 v24, v24, v25
	v_mul_f16_e32 v25, 0xbacd, v10
	v_add_f16_e32 v17, v17, v22
	v_add_f16_e32 v18, v18, v27
	;; [unrolled: 1-line block ×3, first 2 shown]
	v_mul_f16_e32 v22, 0x3964, v66
	v_fmamk_f16 v27, v8, 0x3836, v25
	v_fma_f16 v14, v69, 0xbacd, -v14
	v_fmac_f16_e32 v25, 0xb836, v8
	v_mul_f16_e32 v28, 0x39e9, v10
	v_add_f16_e32 v20, v68, v20
	v_fmamk_f16 v68, v69, 0x39e9, v22
	v_add_f16_e32 v27, v27, v29
	v_add_f16_e32 v14, v14, v23
	v_add_f16_e32 v23, v25, v26
	v_fmamk_f16 v25, v8, 0xb964, v28
	v_mul_f16_e32 v29, 0xba62, v66
	v_fma_f16 v22, v69, 0x39e9, -v22
	v_add_f16_e32 v26, v68, v30
	v_fmac_f16_e32 v28, 0x3964, v8
	v_add_f16_e32 v25, v25, v33
	v_mul_f16_e32 v30, 0xb8d2, v10
	v_fmamk_f16 v33, v69, 0xb8d2, v29
	v_add_f16_e32 v22, v22, v31
	v_mul_f16_e32 v31, 0x3b29, v66
	v_add_f16_e32 v28, v28, v34
	v_fmamk_f16 v34, v8, 0x3a62, v30
	v_add_f16_e32 v33, v33, v37
	v_fma_f16 v29, v69, 0xb8d2, -v29
	v_fmamk_f16 v37, v69, 0x3722, v31
	v_fmac_f16_e32 v30, 0xba62, v8
	v_add_f16_e32 v34, v34, v38
	v_mul_f16_e32 v38, 0x3722, v10
	v_add_f16_e32 v29, v29, v35
	v_add_f16_e32 v35, v37, v40
	v_mul_f16_e32 v37, 0xbbb2, v66
	v_add_f16_e32 v30, v30, v39
	v_fmamk_f16 v39, v8, 0xbb29, v38
	v_fma_f16 v31, v69, 0x3722, -v31
	v_mul_f16_e32 v40, 0xb461, v10
	v_fmamk_f16 v68, v69, 0xb461, v37
	v_add_f16_e32 v46, v46, v71
	v_fmac_f16_e32 v38, 0x3b29, v8
	v_add_f16_e32 v39, v39, v41
	v_add_f16_e32 v31, v31, v36
	v_fmamk_f16 v36, v8, 0x3bb2, v40
	v_add_f16_e32 v41, v68, v42
	v_mul_f16_e32 v42, 0x3bf7, v66
	v_mul_f16_e32 v10, 0x2de8, v10
	v_add_f16_e32 v38, v38, v43
	v_add_f16_e32 v36, v36, v46
	v_fma_f16 v37, v69, 0xb461, -v37
	v_fmamk_f16 v43, v69, 0x2de8, v42
	v_fmamk_f16 v46, v8, 0xbbf7, v10
	v_fma_f16 v42, v69, 0x2de8, -v42
	v_fmac_f16_e32 v10, 0x3bf7, v8
	v_fmac_f16_e32 v40, 0xbbb2, v8
	v_add_f16_e32 v43, v43, v67
	v_add_f16_e32 v20, v46, v20
	;; [unrolled: 1-line block ×3, first 2 shown]
	v_pack_b32_f16 v6, v6, v7
	v_pack_b32_f16 v7, v12, v16
	v_add_f16_e32 v10, v10, v13
	v_add_f16_e32 v37, v37, v44
	;; [unrolled: 1-line block ×3, first 2 shown]
	v_pack_b32_f16 v8, v19, v24
	v_pack_b32_f16 v12, v21, v27
	;; [unrolled: 1-line block ×6, first 2 shown]
	ds_write2_b32 v47, v6, v7 offset1:85
	ds_write2_b32 v47, v8, v12 offset0:170 offset1:255
	ds_write2_b32 v5, v16, v19 offset0:84 offset1:169
	;; [unrolled: 1-line block ×3, first 2 shown]
	v_pack_b32_f16 v6, v43, v20
	v_pack_b32_f16 v7, v15, v10
	;; [unrolled: 1-line block ×9, first 2 shown]
	ds_write2_b32 v3, v6, v7 offset0:168 offset1:253
	ds_write2_b32 v2, v8, v10 offset0:82 offset1:167
	;; [unrolled: 1-line block ×4, first 2 shown]
	ds_write_b32 v47, v9 offset:5440
	s_waitcnt lgkmcnt(0)
	s_barrier
	buffer_gl0_inv
	ds_read2_b32 v[6:7], v47 offset1:85
	v_mad_u64_u32 v[12:13], null, s10, v32, 0
	s_waitcnt lgkmcnt(0)
	v_lshrrev_b32_e32 v10, 16, v6
	v_lshrrev_b32_e32 v18, 16, v7
	v_mul_f16_sdwa v8, v65, v10 dst_sel:DWORD dst_unused:UNUSED_PAD src0_sel:WORD_1 src1_sel:DWORD
	v_mul_f16_sdwa v17, v64, v18 dst_sel:DWORD dst_unused:UNUSED_PAD src0_sel:WORD_1 src1_sel:DWORD
	v_fmac_f16_e32 v8, v65, v6
	v_mul_f16_sdwa v6, v65, v6 dst_sel:DWORD dst_unused:UNUSED_PAD src0_sel:WORD_1 src1_sel:DWORD
	v_fmac_f16_e32 v17, v64, v7
	v_cvt_f32_f16_e32 v8, v8
	v_fma_f16 v6, v65, v10, -v6
	v_cvt_f64_f32_e32 v[8:9], v8
	v_cvt_f32_f16_e32 v6, v6
	v_cvt_f64_f32_e32 v[10:11], v6
	v_mul_f64 v[8:9], v[8:9], s[2:3]
	v_mul_f64 v[10:11], v[10:11], s[2:3]
	v_and_or_b32 v6, 0x1ff, v9, v8
	v_lshrrev_b32_e32 v8, 8, v9
	v_bfe_u32 v14, v9, 20, 11
	v_cmp_ne_u32_e32 vcc_lo, 0, v6
	v_and_or_b32 v10, 0x1ff, v11, v10
	v_lshrrev_b32_e32 v19, 8, v11
	v_bfe_u32 v20, v11, 20, 11
	v_add_nc_u32_e32 v21, 0xfffffc10, v14
	v_cndmask_b32_e64 v6, 0, 1, vcc_lo
	v_cmp_ne_u32_e32 vcc_lo, 0, v10
	v_and_or_b32 v8, 0xffe, v8, v6
	v_sub_nc_u32_e32 v6, 0x3f1, v14
	v_cndmask_b32_e64 v10, 0, 1, vcc_lo
	v_or_b32_e32 v15, 0x1000, v8
	v_med3_i32 v6, v6, 0, 13
	v_and_or_b32 v10, 0xffe, v19, v10
	v_sub_nc_u32_e32 v19, 0x3f1, v20
	v_lshrrev_b32_e32 v16, v6, v15
	v_or_b32_e32 v22, 0x1000, v10
	v_lshlrev_b32_e32 v6, v6, v16
	v_cmp_ne_u32_e32 vcc_lo, v6, v15
	v_cvt_f32_f16_e32 v15, v17
	v_med3_i32 v17, v19, 0, 13
	v_lshl_or_b32 v19, v21, 12, v8
	v_cndmask_b32_e64 v6, 0, 1, vcc_lo
	v_cvt_f64_f32_e32 v[14:15], v15
	v_lshrrev_b32_e32 v23, v17, v22
	v_cmp_gt_i32_e32 vcc_lo, 1, v21
	v_or_b32_e32 v16, v16, v6
	v_mov_b32_e32 v6, v13
	v_cndmask_b32_e32 v13, v19, v16, vcc_lo
	v_lshlrev_b32_e32 v19, v17, v23
	v_mad_u64_u32 v[16:17], null, s11, v32, v[6:7]
	v_mul_f16_sdwa v6, v64, v7 dst_sel:DWORD dst_unused:UNUSED_PAD src0_sel:WORD_1 src1_sel:DWORD
	v_and_b32_e32 v7, 7, v13
	v_cmp_ne_u32_e32 vcc_lo, v19, v22
	v_add_nc_u32_e32 v19, 0xfffffc10, v20
	v_lshrrev_b32_e32 v13, 2, v13
	v_fma_f16 v6, v64, v18, -v6
	v_cmp_eq_u32_e64 s0, 3, v7
	v_cndmask_b32_e64 v17, 0, 1, vcc_lo
	v_cmp_lt_i32_e32 vcc_lo, 5, v7
	v_lshl_or_b32 v18, v19, 12, v10
	v_cvt_f32_f16_e32 v20, v6
	v_mul_f64 v[6:7], v[14:15], s[2:3]
	v_or_b32_e32 v17, v23, v17
	s_or_b32 vcc_lo, s0, vcc_lo
	v_cmp_gt_i32_e64 s1, 1, v19
	v_cvt_f64_f32_e32 v[14:15], v20
	v_add_co_ci_u32_e32 v13, vcc_lo, 0, v13, vcc_lo
	v_cmp_ne_u32_e32 vcc_lo, 0, v8
	v_cndmask_b32_e64 v17, v18, v17, s1
	v_cmp_eq_u32_e64 s1, 0x40f, v21
	v_cndmask_b32_e64 v8, 0, 1, vcc_lo
	v_cmp_gt_i32_e32 vcc_lo, 31, v21
	v_and_b32_e32 v18, 7, v17
	v_lshl_or_b32 v8, v8, 9, 0x7c00
	v_cndmask_b32_e32 v20, 0x7c00, v13, vcc_lo
	v_cmp_lt_i32_e32 vcc_lo, 5, v18
	v_cmp_eq_u32_e64 s0, 3, v18
	v_mov_b32_e32 v13, v16
	v_and_or_b32 v6, 0x1ff, v7, v6
	v_cndmask_b32_e64 v18, v20, v8, s1
	v_lshrrev_b32_e32 v8, 2, v17
	s_or_b32 vcc_lo, s0, vcc_lo
	v_lshrrev_b32_e32 v20, 16, v9
	v_lshrrev_b32_e32 v22, 8, v7
	v_bfe_u32 v23, v7, 20, 11
	v_add_co_ci_u32_e32 v21, vcc_lo, 0, v8, vcc_lo
	v_mul_f64 v[8:9], v[14:15], s[2:3]
	v_cmp_ne_u32_e32 vcc_lo, 0, v6
	ds_read2_b32 v[14:15], v47 offset0:170 offset1:255
	v_mad_u64_u32 v[16:17], null, s8, v63, 0
	v_and_or_b32 v20, 0x8000, v20, v18
	v_cndmask_b32_e64 v6, 0, 1, vcc_lo
	v_cmp_ne_u32_e32 vcc_lo, 0, v10
	v_and_b32_e32 v20, 0xffff, v20
	v_and_or_b32 v22, 0xffe, v22, v6
	v_sub_nc_u32_e32 v6, 0x3f1, v23
	v_cndmask_b32_e64 v10, 0, 1, vcc_lo
	v_cmp_gt_i32_e32 vcc_lo, 31, v19
	v_add_nc_u32_e32 v23, 0xfffffc10, v23
	v_or_b32_e32 v18, 0x1000, v22
	v_med3_i32 v24, v6, 0, 13
	v_lshl_or_b32 v10, v10, 9, 0x7c00
	v_cndmask_b32_e32 v21, 0x7c00, v21, vcc_lo
	v_cmp_eq_u32_e32 vcc_lo, 0x40f, v19
	v_mov_b32_e32 v6, v17
	v_lshrrev_b32_e32 v19, v24, v18
	v_and_or_b32 v8, 0x1ff, v9, v8
	v_lshrrev_b32_e32 v17, 16, v11
	v_cndmask_b32_e32 v21, v21, v10, vcc_lo
	v_mad_u64_u32 v[10:11], null, s9, v63, v[6:7]
	v_lshlrev_b32_e32 v11, v24, v19
	v_cmp_ne_u32_e32 vcc_lo, 0, v8
	s_waitcnt lgkmcnt(0)
	v_lshrrev_b32_e32 v6, 16, v14
	v_lshrrev_b32_e32 v24, 8, v9
	v_bfe_u32 v26, v9, 20, 11
	v_lshrrev_b32_e32 v9, 16, v9
	v_cndmask_b32_e64 v8, 0, 1, vcc_lo
	v_cmp_ne_u32_e32 vcc_lo, v11, v18
	v_mul_f16_sdwa v25, v62, v6 dst_sel:DWORD dst_unused:UNUSED_PAD src0_sel:WORD_1 src1_sel:DWORD
	v_sub_nc_u32_e32 v18, 0x3f1, v26
	v_and_or_b32 v8, 0xffe, v24, v8
	v_cndmask_b32_e64 v11, 0, 1, vcc_lo
	v_fmac_f16_e32 v25, v62, v14
	v_cmp_gt_i32_e32 vcc_lo, 1, v23
	v_med3_i32 v27, v18, 0, 13
	v_mul_f16_sdwa v14, v62, v14 dst_sel:DWORD dst_unused:UNUSED_PAD src0_sel:WORD_1 src1_sel:DWORD
	v_or_b32_e32 v11, v19, v11
	v_lshl_or_b32 v19, v23, 12, v22
	v_cvt_f32_f16_e32 v24, v25
	v_or_b32_e32 v25, 0x1000, v8
	v_fma_f16 v6, v62, v6, -v14
	v_cndmask_b32_e32 v28, v19, v11, vcc_lo
	v_and_or_b32 v11, 0x8000, v17, v21
	v_lshrrev_b32_e32 v21, v27, v25
	v_cvt_f64_f32_e32 v[18:19], v24
	v_mov_b32_e32 v17, v10
	v_and_b32_e32 v24, 7, v28
	v_lshl_or_b32 v20, v11, 16, v20
	v_lshlrev_b32_e32 v27, v27, v21
	v_lshlrev_b64 v[10:11], 2, v[12:13]
	v_lshrrev_b32_e32 v12, 2, v28
	v_cmp_lt_i32_e32 vcc_lo, 5, v24
	v_cmp_eq_u32_e64 s0, 3, v24
	v_cmp_ne_u32_e64 s1, v27, v25
	v_add_nc_u32_e32 v24, 0xfffffc10, v26
	v_cvt_f32_f16_e32 v6, v6
	s_or_b32 vcc_lo, s0, vcc_lo
	v_cndmask_b32_e64 v13, 0, 1, s1
	v_add_co_ci_u32_e32 v25, vcc_lo, 0, v12, vcc_lo
	v_cmp_ne_u32_e32 vcc_lo, 0, v22
	v_lshl_or_b32 v26, v24, 12, v8
	v_or_b32_e32 v21, v21, v13
	v_cndmask_b32_e64 v14, 0, 1, vcc_lo
	v_cmp_gt_i32_e32 vcc_lo, 1, v24
	v_mul_f64 v[12:13], v[18:19], s[2:3]
	v_cvt_f64_f32_e32 v[18:19], v6
	v_lshl_or_b32 v14, v14, 9, 0x7c00
	v_cndmask_b32_e32 v21, v26, v21, vcc_lo
	v_cmp_gt_i32_e32 vcc_lo, 31, v23
	v_cndmask_b32_e32 v22, 0x7c00, v25, vcc_lo
	v_add_co_u32 v26, vcc_lo, s4, v10
	v_add_co_ci_u32_e32 v27, vcc_lo, s5, v11, vcc_lo
	v_and_b32_e32 v25, 7, v21
	v_cmp_eq_u32_e32 vcc_lo, 0x40f, v23
	v_lshrrev_b32_e32 v11, 16, v7
	v_lshlrev_b64 v[6:7], 2, v[16:17]
	s_mul_hi_u32 s4, s8, 0x154
	v_cmp_eq_u32_e64 s0, 3, v25
	v_cndmask_b32_e32 v10, v22, v14, vcc_lo
	v_cmp_lt_i32_e32 vcc_lo, 5, v25
	v_lshrrev_b32_e32 v14, 2, v21
	v_lshrrev_b32_e32 v17, 8, v13
	s_mul_i32 s5, s8, 0x154
	v_and_or_b32 v16, 0x8000, v11, v10
	s_or_b32 vcc_lo, s0, vcc_lo
	v_and_or_b32 v10, 0x1ff, v13, v12
	v_add_co_ci_u32_e32 v12, vcc_lo, 0, v14, vcc_lo
	v_cmp_ne_u32_e32 vcc_lo, 0, v8
	s_mul_i32 s0, s9, 0x154
	s_add_i32 s4, s4, s0
	v_cndmask_b32_e64 v8, 0, 1, vcc_lo
	v_cmp_ne_u32_e32 vcc_lo, 0, v10
	v_mul_f64 v[10:11], v[18:19], s[2:3]
	v_bfe_u32 v18, v13, 20, 11
	v_lshrrev_b32_e32 v19, 16, v15
	v_lshl_or_b32 v8, v8, 9, 0x7c00
	v_cndmask_b32_e64 v14, 0, 1, vcc_lo
	v_cmp_gt_i32_e32 vcc_lo, 31, v24
	v_mul_f16_sdwa v21, v61, v19 dst_sel:DWORD dst_unused:UNUSED_PAD src0_sel:WORD_1 src1_sel:DWORD
	v_and_or_b32 v17, 0xffe, v17, v14
	v_cndmask_b32_e32 v12, 0x7c00, v12, vcc_lo
	v_sub_nc_u32_e32 v14, 0x3f1, v18
	v_cmp_eq_u32_e32 vcc_lo, 0x40f, v24
	v_fmac_f16_e32 v21, v61, v15
	v_add_nc_u32_e32 v18, 0xfffffc10, v18
	v_mul_f16_sdwa v15, v61, v15 dst_sel:DWORD dst_unused:UNUSED_PAD src0_sel:WORD_1 src1_sel:DWORD
	v_med3_i32 v14, v14, 0, 13
	v_cndmask_b32_e32 v8, v12, v8, vcc_lo
	v_or_b32_e32 v12, 0x1000, v17
	v_add_co_u32 v6, vcc_lo, v26, v6
	v_add_co_ci_u32_e32 v7, vcc_lo, v27, v7, vcc_lo
	v_and_or_b32 v8, 0x8000, v9, v8
	v_and_b32_e32 v9, 0xffff, v16
	v_lshrrev_b32_e32 v16, v14, v12
	v_and_or_b32 v10, 0x1ff, v11, v10
	global_store_dword v[6:7], v20, off
	v_bfe_u32 v22, v11, 20, 11
	v_lshl_or_b32 v20, v8, 16, v9
	v_lshlrev_b32_e32 v14, v14, v16
	v_cvt_f32_f16_e32 v8, v21
	v_cmp_ne_u32_e32 vcc_lo, 0, v10
	v_lshrrev_b32_e32 v21, 8, v11
	v_fma_f16 v15, v61, v19, -v15
	v_lshrrev_b32_e32 v11, 16, v11
	v_cvt_f64_f32_e32 v[8:9], v8
	v_cndmask_b32_e64 v10, 0, 1, vcc_lo
	v_cmp_ne_u32_e32 vcc_lo, v14, v12
	v_sub_nc_u32_e32 v14, 0x3f1, v22
	v_cvt_f32_f16_e32 v15, v15
	v_and_or_b32 v10, 0xffe, v21, v10
	v_cndmask_b32_e64 v12, 0, 1, vcc_lo
	v_med3_i32 v14, v14, 0, 13
	v_cmp_gt_i32_e32 vcc_lo, 1, v18
	v_or_b32_e32 v21, 0x1000, v10
	v_or_b32_e32 v12, v16, v12
	v_lshl_or_b32 v16, v18, 12, v17
	v_cndmask_b32_e32 v12, v16, v12, vcc_lo
	v_lshrrev_b32_e32 v16, v14, v21
	v_add_co_u32 v6, vcc_lo, v6, s5
	v_mul_f64 v[8:9], v[8:9], s[2:3]
	v_and_b32_e32 v19, 7, v12
	v_lshlrev_b32_e32 v23, v14, v16
	v_cvt_f64_f32_e32 v[14:15], v15
	v_add_co_ci_u32_e32 v7, vcc_lo, s4, v7, vcc_lo
	v_cmp_lt_i32_e32 vcc_lo, 5, v19
	v_cmp_eq_u32_e64 s0, 3, v19
	v_lshrrev_b32_e32 v12, 2, v12
	v_cmp_ne_u32_e64 s1, v23, v21
	v_add_nc_u32_e32 v21, 0xfffffc10, v22
	global_store_dword v[6:7], v20, off
	s_or_b32 vcc_lo, s0, vcc_lo
	v_add_co_ci_u32_e32 v12, vcc_lo, 0, v12, vcc_lo
	v_cndmask_b32_e64 v19, 0, 1, s1
	v_cmp_gt_i32_e32 vcc_lo, 31, v18
	v_cmp_eq_u32_e64 s1, 0x40f, v18
	v_or_b32_e32 v16, v16, v19
	v_lshl_or_b32 v19, v21, 12, v10
	v_cndmask_b32_e32 v12, 0x7c00, v12, vcc_lo
	v_cmp_gt_i32_e32 vcc_lo, 1, v21
	v_mul_f64 v[14:15], v[14:15], s[2:3]
	v_and_or_b32 v8, 0x1ff, v9, v8
	v_lshrrev_b32_e32 v23, 8, v9
	v_cndmask_b32_e32 v19, v19, v16, vcc_lo
	v_cmp_ne_u32_e32 vcc_lo, 0, v17
	ds_read2_b32 v[16:17], v5 offset0:84 offset1:169
	v_bfe_u32 v5, v9, 20, 11
	v_and_b32_e32 v22, 7, v19
	v_cndmask_b32_e64 v20, 0, 1, vcc_lo
	v_cmp_ne_u32_e32 vcc_lo, 0, v8
	v_cmp_eq_u32_e64 s0, 3, v22
	v_lshl_or_b32 v20, v20, 9, 0x7c00
	v_cndmask_b32_e64 v8, 0, 1, vcc_lo
	v_cmp_lt_i32_e32 vcc_lo, 5, v22
	v_sub_nc_u32_e32 v22, 0x3f1, v5
	v_add_nc_u32_e32 v5, 0xfffffc10, v5
	v_cndmask_b32_e64 v18, v12, v20, s1
	v_lshrrev_b32_e32 v12, 2, v19
	v_and_or_b32 v8, 0xffe, v23, v8
	s_or_b32 vcc_lo, s0, vcc_lo
	v_med3_i32 v20, v22, 0, 13
	v_and_or_b32 v14, 0x1ff, v15, v14
	v_add_co_ci_u32_e32 v12, vcc_lo, 0, v12, vcc_lo
	v_or_b32_e32 v19, 0x1000, v8
	v_cmp_gt_i32_e32 vcc_lo, 31, v21
	v_lshrrev_b32_e32 v22, 16, v13
	s_waitcnt lgkmcnt(0)
	v_lshrrev_b32_e32 v24, 16, v16
	v_bfe_u32 v26, v15, 20, 11
	v_lshrrev_b32_e32 v13, v20, v19
	v_cndmask_b32_e32 v23, 0x7c00, v12, vcc_lo
	v_cmp_ne_u32_e32 vcc_lo, 0, v14
	v_mul_f16_sdwa v25, v60, v24 dst_sel:DWORD dst_unused:UNUSED_PAD src0_sel:WORD_1 src1_sel:DWORD
	v_and_or_b32 v18, 0x8000, v22, v18
	v_lshlrev_b32_e32 v12, v20, v13
	v_lshrrev_b32_e32 v20, 8, v15
	v_cndmask_b32_e64 v14, 0, 1, vcc_lo
	v_cmp_ne_u32_e32 vcc_lo, 0, v10
	v_fmac_f16_e32 v25, v60, v16
	v_and_b32_e32 v18, 0xffff, v18
	v_lshrrev_b32_e32 v15, 16, v15
	v_and_or_b32 v14, 0xffe, v20, v14
	v_cndmask_b32_e64 v10, 0, 1, vcc_lo
	v_cmp_ne_u32_e32 vcc_lo, v12, v19
	v_cvt_f32_f16_e32 v19, v25
	v_sub_nc_u32_e32 v20, 0x3f1, v26
	v_or_b32_e32 v25, 0x1000, v14
	v_lshl_or_b32 v10, v10, 9, 0x7c00
	v_cndmask_b32_e64 v12, 0, 1, vcc_lo
	v_cmp_eq_u32_e32 vcc_lo, 0x40f, v21
	v_med3_i32 v20, v20, 0, 13
	v_or_b32_e32 v27, v13, v12
	v_cvt_f64_f32_e32 v[12:13], v19
	v_cndmask_b32_e32 v10, v23, v10, vcc_lo
	v_lshrrev_b32_e32 v28, v20, v25
	v_lshl_or_b32 v19, v5, 12, v8
	v_cmp_gt_i32_e32 vcc_lo, 1, v5
	v_and_or_b32 v21, 0x8000, v11, v10
	v_mul_f16_sdwa v10, v60, v16 dst_sel:DWORD dst_unused:UNUSED_PAD src0_sel:WORD_1 src1_sel:DWORD
	v_lshlrev_b32_e32 v20, v20, v28
	v_cndmask_b32_e32 v19, v19, v27, vcc_lo
	v_lshl_or_b32 v18, v21, 16, v18
	v_fma_f16 v10, v60, v24, -v10
	v_cmp_ne_u32_e32 vcc_lo, v20, v25
	v_and_b32_e32 v11, 7, v19
	v_add_nc_u32_e32 v20, 0xfffffc10, v26
	v_lshrrev_b32_e32 v19, 2, v19
	v_cvt_f32_f16_e32 v23, v10
	v_cndmask_b32_e64 v16, 0, 1, vcc_lo
	v_cmp_lt_i32_e32 vcc_lo, 5, v11
	v_cmp_eq_u32_e64 s0, 3, v11
	v_lshl_or_b32 v22, v20, 12, v14
	v_mul_f64 v[10:11], v[12:13], s[2:3]
	v_cvt_f64_f32_e32 v[12:13], v23
	v_or_b32_e32 v16, v28, v16
	v_cmp_gt_i32_e64 s1, 1, v20
	s_or_b32 vcc_lo, s0, vcc_lo
	v_lshrrev_b32_e32 v21, 16, v17
	v_add_co_ci_u32_e32 v19, vcc_lo, 0, v19, vcc_lo
	v_cndmask_b32_e64 v16, v22, v16, s1
	v_cmp_ne_u32_e32 vcc_lo, 0, v8
	v_cmp_eq_u32_e64 s1, 0x40f, v5
	v_and_b32_e32 v22, 7, v16
	v_cndmask_b32_e64 v8, 0, 1, vcc_lo
	v_cmp_gt_i32_e32 vcc_lo, 31, v5
	v_lshrrev_b32_e32 v5, 2, v16
	v_lshrrev_b32_e32 v16, 16, v9
	v_cmp_eq_u32_e64 s0, 3, v22
	v_lshl_or_b32 v8, v8, 9, 0x7c00
	v_cndmask_b32_e32 v19, 0x7c00, v19, vcc_lo
	v_cmp_lt_i32_e32 vcc_lo, 5, v22
	v_and_or_b32 v10, 0x1ff, v11, v10
	v_bfe_u32 v22, v11, 20, 11
	v_cndmask_b32_e64 v19, v19, v8, s1
	s_or_b32 vcc_lo, s0, vcc_lo
	v_mul_f64 v[8:9], v[12:13], s[2:3]
	v_add_co_ci_u32_e32 v5, vcc_lo, 0, v5, vcc_lo
	v_cmp_ne_u32_e32 vcc_lo, 0, v10
	v_lshrrev_b32_e32 v12, 8, v11
	v_mul_f16_sdwa v13, v59, v21 dst_sel:DWORD dst_unused:UNUSED_PAD src0_sel:WORD_1 src1_sel:DWORD
	v_lshrrev_b32_e32 v11, 16, v11
	v_cndmask_b32_e64 v10, 0, 1, vcc_lo
	v_cmp_ne_u32_e32 vcc_lo, 0, v14
	v_fmac_f16_e32 v13, v59, v17
	v_mul_f16_sdwa v17, v59, v17 dst_sel:DWORD dst_unused:UNUSED_PAD src0_sel:WORD_1 src1_sel:DWORD
	v_and_or_b32 v10, 0xffe, v12, v10
	v_cndmask_b32_e64 v14, 0, 1, vcc_lo
	v_sub_nc_u32_e32 v12, 0x3f1, v22
	v_cmp_gt_i32_e32 vcc_lo, 31, v20
	v_add_nc_u32_e32 v22, 0xfffffc10, v22
	v_or_b32_e32 v23, 0x1000, v10
	v_lshl_or_b32 v14, v14, 9, 0x7c00
	v_med3_i32 v24, v12, 0, 13
	v_cndmask_b32_e32 v5, 0x7c00, v5, vcc_lo
	v_cmp_eq_u32_e32 vcc_lo, 0x40f, v20
	v_and_or_b32 v8, 0x1ff, v9, v8
	v_cvt_f32_f16_e32 v12, v13
	v_lshrrev_b32_e32 v20, v24, v23
	v_cmp_gt_i32_e64 s1, 31, v22
	v_cndmask_b32_e32 v14, v5, v14, vcc_lo
	v_add_co_u32 v5, vcc_lo, v6, s5
	v_add_co_ci_u32_e32 v6, vcc_lo, s4, v7, vcc_lo
	v_and_or_b32 v14, 0x8000, v15, v14
	v_lshlrev_b32_e32 v15, v24, v20
	v_cmp_ne_u32_e32 vcc_lo, 0, v8
	v_cvt_f64_f32_e32 v[12:13], v12
	v_and_or_b32 v7, 0x8000, v16, v19
	v_lshrrev_b32_e32 v16, 8, v9
	v_bfe_u32 v19, v9, 20, 11
	v_cndmask_b32_e64 v8, 0, 1, vcc_lo
	v_cmp_ne_u32_e32 vcc_lo, v15, v23
	v_and_b32_e32 v7, 0xffff, v7
	global_store_dword v[5:6], v18, off
	v_lshrrev_b32_e32 v9, 16, v9
	v_and_or_b32 v16, 0xffe, v16, v8
	v_cndmask_b32_e64 v15, 0, 1, vcc_lo
	v_sub_nc_u32_e32 v8, 0x3f1, v19
	v_cmp_gt_i32_e32 vcc_lo, 1, v22
	v_lshl_or_b32 v14, v14, 16, v7
	v_or_b32_e32 v23, 0x1000, v16
	v_or_b32_e32 v15, v20, v15
	v_lshl_or_b32 v20, v22, 12, v10
	v_med3_i32 v24, v8, 0, 13
	v_cndmask_b32_e32 v15, v20, v15, vcc_lo
	v_lshrrev_b32_e32 v20, v24, v23
	v_mul_f64 v[7:8], v[12:13], s[2:3]
	v_add_co_u32 v12, vcc_lo, v5, s5
	v_fma_f16 v5, v59, v21, -v17
	v_lshlrev_b32_e32 v24, v24, v20
	v_and_b32_e32 v25, 7, v15
	v_add_co_ci_u32_e32 v13, vcc_lo, s4, v6, vcc_lo
	v_cvt_f32_f16_e32 v5, v5
	v_cmp_ne_u32_e64 s0, v24, v23
	v_cmp_lt_i32_e32 vcc_lo, 5, v25
	global_store_dword v[12:13], v14, off
	v_lshrrev_b32_e32 v14, 2, v15
	v_add_nc_u32_e32 v17, 0xfffffc10, v19
	v_cndmask_b32_e64 v6, 0, 1, s0
	v_cmp_eq_u32_e64 s0, 3, v25
	v_lshl_or_b32 v18, v17, 12, v16
	v_or_b32_e32 v15, v20, v6
	v_cvt_f64_f32_e32 v[5:6], v5
	s_or_b32 vcc_lo, s0, vcc_lo
	v_and_or_b32 v7, 0x1ff, v8, v7
	v_add_co_ci_u32_e32 v19, vcc_lo, 0, v14, vcc_lo
	v_cmp_gt_i32_e32 vcc_lo, 1, v17
	v_lshrrev_b32_e32 v14, 8, v8
	v_bfe_u32 v20, v8, 20, 11
	v_lshrrev_b32_e32 v8, 16, v8
	v_cndmask_b32_e32 v18, v18, v15, vcc_lo
	v_cmp_ne_u32_e32 vcc_lo, 0, v7
	v_and_b32_e32 v21, 7, v18
	v_cndmask_b32_e64 v7, 0, 1, vcc_lo
	v_cmp_ne_u32_e32 vcc_lo, 0, v10
	v_lshrrev_b32_e32 v18, 2, v18
	v_cmp_eq_u32_e64 s0, 3, v21
	v_and_or_b32 v23, 0xffe, v14, v7
	v_cndmask_b32_e64 v10, 0, 1, vcc_lo
	v_cmp_lt_i32_e32 vcc_lo, 5, v21
	ds_read2_b32 v[14:15], v4 offset0:126 offset1:211
	v_mul_f64 v[4:5], v[5:6], s[2:3]
	v_sub_nc_u32_e32 v7, 0x3f1, v20
	v_or_b32_e32 v21, 0x1000, v23
	s_or_b32 vcc_lo, s0, vcc_lo
	v_cndmask_b32_e64 v6, 0x7c00, v19, s1
	v_add_co_ci_u32_e32 v18, vcc_lo, 0, v18, vcc_lo
	v_med3_i32 v7, v7, 0, 13
	v_lshl_or_b32 v10, v10, 9, 0x7c00
	v_cmp_eq_u32_e32 vcc_lo, 0x40f, v22
	v_lshrrev_b32_e32 v19, v7, v21
	v_cndmask_b32_e32 v10, v6, v10, vcc_lo
	v_cmp_gt_i32_e32 vcc_lo, 31, v17
	v_lshlrev_b32_e32 v6, v7, v19
	s_waitcnt lgkmcnt(0)
	v_lshrrev_b32_e32 v22, 16, v14
	v_cndmask_b32_e32 v18, 0x7c00, v18, vcc_lo
	v_cmp_ne_u32_e32 vcc_lo, 0, v16
	v_and_or_b32 v4, 0x1ff, v5, v4
	v_add_nc_u32_e32 v16, 0xfffffc10, v20
	v_mul_f16_sdwa v20, v58, v22 dst_sel:DWORD dst_unused:UNUSED_PAD src0_sel:WORD_1 src1_sel:DWORD
	v_bfe_u32 v24, v5, 20, 11
	v_cndmask_b32_e64 v7, 0, 1, vcc_lo
	v_cmp_ne_u32_e32 vcc_lo, v6, v21
	v_and_or_b32 v10, 0x8000, v11, v10
	v_fmac_f16_e32 v20, v58, v14
	v_lshl_or_b32 v21, v7, 9, 0x7c00
	v_cndmask_b32_e64 v6, 0, 1, vcc_lo
	v_cmp_ne_u32_e32 vcc_lo, 0, v4
	v_lshl_or_b32 v7, v16, 12, v23
	v_cvt_f32_f16_e32 v20, v20
	v_or_b32_e32 v6, v19, v6
	v_cndmask_b32_e64 v4, 0, 1, vcc_lo
	v_lshrrev_b32_e32 v19, 8, v5
	v_cmp_gt_i32_e32 vcc_lo, 1, v16
	v_and_or_b32 v4, 0xffe, v19, v4
	v_cndmask_b32_e32 v25, v7, v6, vcc_lo
	v_sub_nc_u32_e32 v19, 0x3f1, v24
	v_cmp_eq_u32_e32 vcc_lo, 0x40f, v17
	v_cvt_f64_f32_e32 v[6:7], v20
	v_or_b32_e32 v20, 0x1000, v4
	v_med3_i32 v19, v19, 0, 13
	v_cndmask_b32_e32 v17, v18, v21, vcc_lo
	v_and_b32_e32 v18, 7, v25
	v_and_or_b32 v11, 0x8000, v9, v17
	v_mul_f16_sdwa v9, v58, v14 dst_sel:DWORD dst_unused:UNUSED_PAD src0_sel:WORD_1 src1_sel:DWORD
	v_lshrrev_b32_e32 v14, v19, v20
	v_cmp_lt_i32_e32 vcc_lo, 5, v18
	v_cmp_eq_u32_e64 s0, 3, v18
	v_and_b32_e32 v17, 0xffff, v10
	v_lshrrev_b32_e32 v10, 2, v25
	v_lshlrev_b32_e32 v18, v19, v14
	v_fma_f16 v9, v58, v22, -v9
	s_or_b32 vcc_lo, s0, vcc_lo
	v_lshl_or_b32 v17, v11, 16, v17
	v_add_co_ci_u32_e32 v19, vcc_lo, 0, v10, vcc_lo
	v_cmp_ne_u32_e32 vcc_lo, v18, v20
	v_cvt_f32_f16_e32 v9, v9
	v_mul_f64 v[6:7], v[6:7], s[2:3]
	v_add_nc_u32_e32 v20, 0xfffffc10, v24
	v_cndmask_b32_e64 v18, 0, 1, vcc_lo
	v_cmp_ne_u32_e32 vcc_lo, 0, v23
	v_cvt_f64_f32_e32 v[9:10], v9
	v_or_b32_e32 v14, v14, v18
	v_cndmask_b32_e64 v21, 0, 1, vcc_lo
	v_cmp_gt_i32_e32 vcc_lo, 31, v16
	v_lshl_or_b32 v18, v20, 12, v4
	v_lshl_or_b32 v21, v21, 9, 0x7c00
	v_cndmask_b32_e32 v19, 0x7c00, v19, vcc_lo
	v_cmp_gt_i32_e32 vcc_lo, 1, v20
	v_cndmask_b32_e32 v14, v18, v14, vcc_lo
	v_cmp_eq_u32_e32 vcc_lo, 0x40f, v16
	v_and_or_b32 v6, 0x1ff, v7, v6
	v_and_b32_e32 v18, 7, v14
	v_cndmask_b32_e32 v16, v19, v21, vcc_lo
	v_add_co_u32 v11, vcc_lo, v12, s5
	v_add_co_ci_u32_e32 v12, vcc_lo, s4, v13, vcc_lo
	v_and_or_b32 v13, 0x8000, v8, v16
	v_mul_f64 v[8:9], v[9:10], s[2:3]
	v_cmp_ne_u32_e64 s1, 0, v6
	v_cmp_lt_i32_e32 vcc_lo, 5, v18
	v_cmp_eq_u32_e64 s0, 3, v18
	v_lshrrev_b32_e32 v10, 2, v14
	v_lshrrev_b32_e32 v14, 8, v7
	v_cndmask_b32_e64 v6, 0, 1, s1
	v_bfe_u32 v16, v7, 20, 11
	s_or_b32 vcc_lo, s0, vcc_lo
	v_lshrrev_b32_e32 v18, 16, v15
	v_add_co_ci_u32_e32 v10, vcc_lo, 0, v10, vcc_lo
	v_and_or_b32 v6, 0xffe, v14, v6
	v_sub_nc_u32_e32 v14, 0x3f1, v16
	v_cmp_ne_u32_e32 vcc_lo, 0, v4
	v_mul_f16_sdwa v21, v57, v18 dst_sel:DWORD dst_unused:UNUSED_PAD src0_sel:WORD_1 src1_sel:DWORD
	v_add_nc_u32_e32 v16, 0xfffffc10, v16
	v_or_b32_e32 v19, 0x1000, v6
	v_med3_i32 v14, v14, 0, 13
	v_cndmask_b32_e64 v4, 0, 1, vcc_lo
	v_cmp_gt_i32_e32 vcc_lo, 31, v20
	v_fmac_f16_e32 v21, v57, v15
	v_and_or_b32 v8, 0x1ff, v9, v8
	v_lshrrev_b32_e32 v22, v14, v19
	v_lshl_or_b32 v4, v4, 9, 0x7c00
	v_cndmask_b32_e32 v10, 0x7c00, v10, vcc_lo
	v_cmp_eq_u32_e32 vcc_lo, 0x40f, v20
	v_bfe_u32 v23, v9, 20, 11
	v_lshlrev_b32_e32 v14, v14, v22
	v_lshrrev_b32_e32 v20, 16, v5
	v_mul_f16_sdwa v15, v57, v15 dst_sel:DWORD dst_unused:UNUSED_PAD src0_sel:WORD_1 src1_sel:DWORD
	v_cndmask_b32_e32 v10, v10, v4, vcc_lo
	v_cmp_ne_u32_e32 vcc_lo, 0, v8
	v_cvt_f32_f16_e32 v4, v21
	v_lshrrev_b32_e32 v21, 8, v9
	v_and_b32_e32 v13, 0xffff, v13
	v_and_or_b32 v10, 0x8000, v20, v10
	v_cndmask_b32_e64 v8, 0, 1, vcc_lo
	v_cmp_ne_u32_e32 vcc_lo, v14, v19
	v_cvt_f64_f32_e32 v[4:5], v4
	v_sub_nc_u32_e32 v19, 0x3f1, v23
	v_lshl_or_b32 v20, v16, 12, v6
	v_and_or_b32 v8, 0xffe, v21, v8
	v_cndmask_b32_e64 v14, 0, 1, vcc_lo
	v_cmp_gt_i32_e32 vcc_lo, 1, v16
	v_med3_i32 v19, v19, 0, 13
	v_fma_f16 v15, v57, v18, -v15
	v_or_b32_e32 v21, 0x1000, v8
	v_or_b32_e32 v14, v22, v14
	global_store_dword v[11:12], v17, off
	v_lshl_or_b32 v17, v10, 16, v13
	v_cvt_f32_f16_e32 v13, v15
	v_lshrrev_b32_e32 v9, 16, v9
	v_cndmask_b32_e32 v14, v20, v14, vcc_lo
	v_lshrrev_b32_e32 v20, v19, v21
	v_add_co_u32 v10, vcc_lo, v11, s5
	v_add_co_ci_u32_e32 v11, vcc_lo, s4, v12, vcc_lo
	v_lshlrev_b32_e32 v19, v19, v20
	v_and_b32_e32 v18, 7, v14
	v_mul_f64 v[4:5], v[4:5], s[2:3]
	v_cvt_f64_f32_e32 v[12:13], v13
	v_lshrrev_b32_e32 v14, 2, v14
	v_cmp_ne_u32_e64 s0, v19, v21
	v_cmp_lt_i32_e32 vcc_lo, 5, v18
	v_add_nc_u32_e32 v19, 0xfffffc10, v23
	global_store_dword v[10:11], v17, off
	v_cndmask_b32_e64 v15, 0, 1, s0
	v_cmp_eq_u32_e64 s0, 3, v18
	v_lshl_or_b32 v17, v19, 12, v8
	v_or_b32_e32 v15, v20, v15
	s_or_b32 vcc_lo, s0, vcc_lo
	v_add_co_ci_u32_e32 v14, vcc_lo, 0, v14, vcc_lo
	v_cmp_ne_u32_e32 vcc_lo, 0, v6
	v_and_or_b32 v4, 0x1ff, v5, v4
	v_cndmask_b32_e64 v6, 0, 1, vcc_lo
	v_cmp_gt_i32_e32 vcc_lo, 1, v19
	v_mul_f64 v[12:13], v[12:13], s[2:3]
	v_lshrrev_b32_e32 v20, 8, v5
	v_bfe_u32 v21, v5, 20, 11
	v_lshl_or_b32 v6, v6, 9, 0x7c00
	v_cndmask_b32_e32 v15, v17, v15, vcc_lo
	v_cmp_gt_i32_e32 vcc_lo, 31, v16
	v_and_b32_e32 v17, 7, v15
	v_cndmask_b32_e32 v14, 0x7c00, v14, vcc_lo
	v_cmp_ne_u32_e32 vcc_lo, 0, v4
	ds_read2_b32 v[3:4], v3 offset0:168 offset1:253
	v_cmp_eq_u32_e64 s0, 3, v17
	v_cndmask_b32_e64 v18, 0, 1, vcc_lo
	v_cmp_eq_u32_e32 vcc_lo, 0x40f, v16
	v_and_or_b32 v16, 0xffe, v20, v18
	v_cndmask_b32_e32 v14, v14, v6, vcc_lo
	v_cmp_lt_i32_e32 vcc_lo, 5, v17
	v_lshrrev_b32_e32 v17, 16, v7
	v_lshrrev_b32_e32 v7, 2, v15
	v_sub_nc_u32_e32 v6, 0x3f1, v21
	v_or_b32_e32 v15, 0x1000, v16
	s_or_b32 vcc_lo, s0, vcc_lo
	v_and_or_b32 v12, 0x1ff, v13, v12
	v_add_co_ci_u32_e32 v7, vcc_lo, 0, v7, vcc_lo
	v_med3_i32 v6, v6, 0, 13
	v_cmp_ne_u32_e32 vcc_lo, 0, v8
	s_waitcnt lgkmcnt(0)
	v_lshrrev_b32_e32 v20, 16, v3
	v_lshrrev_b32_e32 v23, 8, v13
	v_bfe_u32 v24, v13, 20, 11
	v_lshrrev_b32_e32 v18, v6, v15
	v_cndmask_b32_e64 v8, 0, 1, vcc_lo
	v_cmp_gt_i32_e32 vcc_lo, 31, v19
	v_and_or_b32 v14, 0x8000, v17, v14
	v_lshrrev_b32_e32 v13, 16, v13
	v_lshlrev_b32_e32 v6, v6, v18
	v_lshl_or_b32 v8, v8, 9, 0x7c00
	v_cndmask_b32_e32 v22, 0x7c00, v7, vcc_lo
	v_cmp_ne_u32_e32 vcc_lo, 0, v12
	v_mul_f16_sdwa v7, v56, v20 dst_sel:DWORD dst_unused:UNUSED_PAD src0_sel:WORD_1 src1_sel:DWORD
	v_and_b32_e32 v14, 0xffff, v14
	v_cndmask_b32_e64 v12, 0, 1, vcc_lo
	v_cmp_ne_u32_e32 vcc_lo, v6, v15
	v_add_nc_u32_e32 v15, 0xfffffc10, v21
	v_sub_nc_u32_e32 v21, 0x3f1, v24
	v_fmac_f16_e32 v7, v56, v3
	v_and_or_b32 v12, 0xffe, v23, v12
	v_cndmask_b32_e64 v6, 0, 1, vcc_lo
	v_lshl_or_b32 v23, v15, 12, v16
	v_med3_i32 v21, v21, 0, 13
	v_cmp_gt_i32_e32 vcc_lo, 1, v15
	v_or_b32_e32 v25, 0x1000, v12
	v_or_b32_e32 v18, v18, v6
	v_cvt_f32_f16_e32 v7, v7
	v_mul_f16_sdwa v3, v56, v3 dst_sel:DWORD dst_unused:UNUSED_PAD src0_sel:WORD_1 src1_sel:DWORD
	v_cndmask_b32_e32 v18, v23, v18, vcc_lo
	v_cmp_eq_u32_e32 vcc_lo, 0x40f, v19
	v_lshrrev_b32_e32 v19, v21, v25
	v_cvt_f64_f32_e32 v[6:7], v7
	v_fma_f16 v3, v56, v20, -v3
	v_and_b32_e32 v17, 7, v18
	v_cndmask_b32_e32 v8, v22, v8, vcc_lo
	v_lshlrev_b32_e32 v21, v21, v19
	v_add_nc_u32_e32 v20, 0xfffffc10, v24
	v_cvt_f32_f16_e32 v3, v3
	v_cmp_lt_i32_e32 vcc_lo, 5, v17
	v_and_or_b32 v22, 0x8000, v9, v8
	v_cmp_ne_u32_e64 s0, v21, v25
	v_lshl_or_b32 v14, v22, 16, v14
	v_cndmask_b32_e64 v8, 0, 1, s0
	v_cmp_eq_u32_e64 s0, 3, v17
	v_lshrrev_b32_e32 v17, 2, v18
	v_or_b32_e32 v18, v19, v8
	s_or_b32 vcc_lo, s0, vcc_lo
	v_cvt_f64_f32_e32 v[8:9], v3
	v_add_co_ci_u32_e32 v3, vcc_lo, 0, v17, vcc_lo
	v_cmp_ne_u32_e32 vcc_lo, 0, v16
	v_mul_f64 v[6:7], v[6:7], s[2:3]
	v_lshl_or_b32 v19, v20, 12, v12
	v_cndmask_b32_e64 v16, 0, 1, vcc_lo
	v_cmp_gt_i32_e32 vcc_lo, 1, v20
	v_lshl_or_b32 v16, v16, 9, 0x7c00
	v_cndmask_b32_e32 v17, v19, v18, vcc_lo
	v_cmp_gt_i32_e32 vcc_lo, 31, v15
	v_and_b32_e32 v18, 7, v17
	v_cndmask_b32_e32 v3, 0x7c00, v3, vcc_lo
	v_add_co_u32 v10, vcc_lo, v10, s5
	v_add_co_ci_u32_e32 v11, vcc_lo, s4, v11, vcc_lo
	v_cmp_eq_u32_e32 vcc_lo, 0x40f, v15
	v_lshrrev_b32_e32 v15, 16, v5
	v_cmp_eq_u32_e64 s0, 3, v18
	v_lshrrev_b32_e32 v17, 2, v17
	global_store_dword v[10:11], v14, off
	v_cndmask_b32_e32 v3, v3, v16, vcc_lo
	v_and_or_b32 v16, 0x1ff, v7, v6
	v_mul_f64 v[5:6], v[8:9], s[2:3]
	v_cmp_lt_i32_e32 vcc_lo, 5, v18
	v_lshrrev_b32_e32 v18, 16, v4
	v_lshrrev_b32_e32 v9, 8, v7
	v_cmp_ne_u32_e64 s1, 0, v16
	v_bfe_u32 v16, v7, 20, 11
	s_or_b32 vcc_lo, s0, vcc_lo
	v_mul_f16_sdwa v19, v55, v18 dst_sel:DWORD dst_unused:UNUSED_PAD src0_sel:WORD_1 src1_sel:DWORD
	v_add_co_ci_u32_e32 v17, vcc_lo, 0, v17, vcc_lo
	v_cndmask_b32_e64 v8, 0, 1, s1
	v_cmp_ne_u32_e32 vcc_lo, 0, v12
	v_fmac_f16_e32 v19, v55, v4
	v_and_or_b32 v3, 0x8000, v15, v3
	v_mul_f16_sdwa v4, v55, v4 dst_sel:DWORD dst_unused:UNUSED_PAD src0_sel:WORD_1 src1_sel:DWORD
	v_and_or_b32 v21, 0xffe, v9, v8
	v_sub_nc_u32_e32 v8, 0x3f1, v16
	v_cndmask_b32_e64 v9, 0, 1, vcc_lo
	v_cmp_gt_i32_e32 vcc_lo, 31, v20
	v_add_nc_u32_e32 v16, 0xfffffc10, v16
	v_or_b32_e32 v12, 0x1000, v21
	v_med3_i32 v22, v8, 0, 13
	v_cvt_f32_f16_e32 v8, v19
	v_cndmask_b32_e32 v17, 0x7c00, v17, vcc_lo
	v_lshl_or_b32 v19, v9, 9, 0x7c00
	v_and_or_b32 v5, 0x1ff, v6, v5
	v_lshrrev_b32_e32 v23, v22, v12
	v_cmp_eq_u32_e32 vcc_lo, 0x40f, v20
	v_cvt_f64_f32_e32 v[8:9], v8
	v_bfe_u32 v20, v6, 20, 11
	v_and_b32_e32 v3, 0xffff, v3
	v_fma_f16 v4, v55, v18, -v4
	v_cndmask_b32_e32 v15, v17, v19, vcc_lo
	v_lshlrev_b32_e32 v17, v22, v23
	v_cmp_ne_u32_e32 vcc_lo, 0, v5
	v_lshrrev_b32_e32 v19, 8, v6
	v_cvt_f32_f16_e32 v4, v4
	v_and_or_b32 v13, 0x8000, v13, v15
	v_lshrrev_b32_e32 v7, 16, v7
	v_cndmask_b32_e64 v5, 0, 1, vcc_lo
	v_cmp_ne_u32_e32 vcc_lo, v17, v12
	v_sub_nc_u32_e32 v17, 0x3f1, v20
	v_lshl_or_b32 v14, v13, 16, v3
	v_and_or_b32 v5, 0xffe, v19, v5
	v_cndmask_b32_e64 v12, 0, 1, vcc_lo
	v_lshl_or_b32 v19, v16, 12, v21
	v_cmp_gt_i32_e32 vcc_lo, 1, v16
	v_med3_i32 v17, v17, 0, 13
	v_or_b32_e32 v15, 0x1000, v5
	v_or_b32_e32 v12, v23, v12
	v_mul_f64 v[8:9], v[8:9], s[2:3]
	v_cndmask_b32_e32 v12, v19, v12, vcc_lo
	v_lshrrev_b32_e32 v19, v17, v15
	v_and_b32_e32 v22, 7, v12
	v_lshlrev_b32_e32 v3, v17, v19
	v_lshrrev_b32_e32 v12, 2, v12
	v_cmp_lt_i32_e32 vcc_lo, 5, v22
	v_cmp_eq_u32_e64 s0, 3, v22
	v_cmp_ne_u32_e64 s1, v3, v15
	v_add_nc_u32_e32 v15, 0xfffffc10, v20
	v_cvt_f64_f32_e32 v[3:4], v4
	s_or_b32 vcc_lo, s0, vcc_lo
	v_cndmask_b32_e64 v13, 0, 1, s1
	v_add_co_ci_u32_e32 v17, vcc_lo, 0, v12, vcc_lo
	v_cmp_ne_u32_e32 vcc_lo, 0, v21
	v_and_or_b32 v8, 0x1ff, v9, v8
	v_or_b32_e32 v12, v19, v13
	v_lshl_or_b32 v13, v15, 12, v5
	v_bfe_u32 v20, v9, 20, 11
	v_cndmask_b32_e64 v18, 0, 1, vcc_lo
	v_cmp_gt_i32_e32 vcc_lo, 1, v15
	v_sub_nc_u32_e32 v22, 0x3f1, v20
	v_lshl_or_b32 v18, v18, 9, 0x7c00
	v_cndmask_b32_e32 v19, v13, v12, vcc_lo
	v_cmp_ne_u32_e32 vcc_lo, 0, v8
	ds_read2_b32 v[12:13], v2 offset0:82 offset1:167
	v_lshrrev_b32_e32 v8, 8, v9
	v_and_b32_e32 v21, 7, v19
	v_cndmask_b32_e64 v2, 0, 1, vcc_lo
	v_cmp_gt_i32_e32 vcc_lo, 31, v16
	v_cmp_eq_u32_e64 s0, 3, v21
	v_and_or_b32 v8, 0xffe, v8, v2
	v_cndmask_b32_e32 v17, 0x7c00, v17, vcc_lo
	v_cmp_eq_u32_e32 vcc_lo, 0x40f, v16
	v_mul_f64 v[2:3], v[3:4], s[2:3]
	v_or_b32_e32 v16, 0x1000, v8
	v_cndmask_b32_e32 v4, v17, v18, vcc_lo
	v_cmp_lt_i32_e32 vcc_lo, 5, v21
	v_med3_i32 v17, v22, 0, 13
	v_and_or_b32 v18, 0x8000, v7, v4
	v_lshrrev_b32_e32 v4, 2, v19
	s_or_b32 vcc_lo, s0, vcc_lo
	v_lshrrev_b32_e32 v7, v17, v16
	s_waitcnt lgkmcnt(0)
	v_lshrrev_b32_e32 v19, 16, v12
	v_add_co_ci_u32_e32 v4, vcc_lo, 0, v4, vcc_lo
	v_cmp_ne_u32_e32 vcc_lo, 0, v5
	v_lshlrev_b32_e32 v17, v17, v7
	v_mul_f16_sdwa v21, v54, v19 dst_sel:DWORD dst_unused:UNUSED_PAD src0_sel:WORD_1 src1_sel:DWORD
	v_cndmask_b32_e64 v5, 0, 1, vcc_lo
	v_cmp_gt_i32_e32 vcc_lo, 31, v15
	v_and_or_b32 v2, 0x1ff, v3, v2
	v_fmac_f16_e32 v21, v54, v12
	v_mul_f16_sdwa v12, v54, v12 dst_sel:DWORD dst_unused:UNUSED_PAD src0_sel:WORD_1 src1_sel:DWORD
	v_lshl_or_b32 v23, v5, 9, 0x7c00
	v_cndmask_b32_e32 v22, 0x7c00, v4, vcc_lo
	v_cmp_ne_u32_e32 vcc_lo, v17, v16
	v_cvt_f32_f16_e32 v4, v21
	v_add_nc_u32_e32 v17, 0xfffffc10, v20
	v_lshrrev_b32_e32 v20, 8, v3
	v_bfe_u32 v21, v3, 20, 11
	v_cndmask_b32_e64 v16, 0, 1, vcc_lo
	v_cmp_ne_u32_e32 vcc_lo, 0, v2
	v_cvt_f64_f32_e32 v[4:5], v4
	v_or_b32_e32 v7, v7, v16
	v_cndmask_b32_e64 v2, 0, 1, vcc_lo
	v_cmp_eq_u32_e32 vcc_lo, 0x40f, v15
	v_lshl_or_b32 v16, v17, 12, v8
	v_and_or_b32 v2, 0xffe, v20, v2
	v_sub_nc_u32_e32 v20, 0x3f1, v21
	v_cndmask_b32_e32 v15, v22, v23, vcc_lo
	v_cmp_gt_i32_e32 vcc_lo, 1, v17
	v_lshrrev_b32_e32 v22, 16, v6
	v_or_b32_e32 v23, 0x1000, v2
	v_med3_i32 v20, v20, 0, 13
	v_cndmask_b32_e32 v16, v16, v7, vcc_lo
	v_add_co_u32 v6, vcc_lo, v10, s5
	v_add_co_ci_u32_e32 v7, vcc_lo, s4, v11, vcc_lo
	v_lshrrev_b32_e32 v11, v20, v23
	v_and_or_b32 v10, 0x8000, v22, v15
	v_and_b32_e32 v15, 0xffff, v18
	v_and_b32_e32 v18, 7, v16
	v_mul_f64 v[4:5], v[4:5], s[2:3]
	v_lshlrev_b32_e32 v20, v20, v11
	global_store_dword v[6:7], v14, off
	v_lshl_or_b32 v22, v10, 16, v15
	v_fma_f16 v10, v54, v19, -v12
	v_cmp_lt_i32_e32 vcc_lo, 5, v18
	v_cmp_ne_u32_e64 s0, v20, v23
	v_lshrrev_b32_e32 v15, 2, v16
	v_add_nc_u32_e32 v14, 0xfffffc10, v21
	v_cvt_f32_f16_e32 v10, v10
	v_cndmask_b32_e64 v12, 0, 1, s0
	v_cmp_eq_u32_e64 s0, 3, v18
	v_lshl_or_b32 v16, v14, 12, v2
	v_or_b32_e32 v12, v11, v12
	s_or_b32 vcc_lo, s0, vcc_lo
	v_cvt_f64_f32_e32 v[10:11], v10
	v_add_co_ci_u32_e32 v15, vcc_lo, 0, v15, vcc_lo
	v_cmp_ne_u32_e32 vcc_lo, 0, v8
	v_and_or_b32 v4, 0x1ff, v5, v4
	v_lshrrev_b32_e32 v18, 8, v5
	v_bfe_u32 v19, v5, 20, 11
	v_lshrrev_b32_e32 v5, 16, v5
	v_cndmask_b32_e64 v8, 0, 1, vcc_lo
	v_cmp_gt_i32_e32 vcc_lo, 1, v14
	v_lshl_or_b32 v8, v8, 9, 0x7c00
	v_cndmask_b32_e32 v12, v16, v12, vcc_lo
	v_cmp_gt_i32_e32 vcc_lo, 31, v17
	v_and_b32_e32 v16, 7, v12
	v_cndmask_b32_e32 v15, 0x7c00, v15, vcc_lo
	v_cmp_ne_u32_e32 vcc_lo, 0, v4
	v_cmp_eq_u32_e64 s0, 3, v16
	v_cndmask_b32_e64 v4, 0, 1, vcc_lo
	v_cmp_eq_u32_e32 vcc_lo, 0x40f, v17
	v_lshrrev_b32_e32 v17, 16, v9
	v_and_or_b32 v4, 0xffe, v18, v4
	v_cndmask_b32_e32 v15, v15, v8, vcc_lo
	v_cmp_lt_i32_e32 vcc_lo, 5, v16
	v_mul_f64 v[8:9], v[10:11], s[2:3]
	v_lshrrev_b32_e32 v10, 2, v12
	v_sub_nc_u32_e32 v18, 0x3f1, v19
	v_or_b32_e32 v11, 0x1000, v4
	s_or_b32 vcc_lo, s0, vcc_lo
	v_lshrrev_b32_e32 v16, 16, v13
	v_add_co_ci_u32_e32 v10, vcc_lo, 0, v10, vcc_lo
	v_med3_i32 v12, v18, 0, 13
	v_cmp_ne_u32_e32 vcc_lo, 0, v2
	v_mul_f16_sdwa v20, v53, v16 dst_sel:DWORD dst_unused:UNUSED_PAD src0_sel:WORD_1 src1_sel:DWORD
	v_and_or_b32 v15, 0x8000, v17, v15
	v_add_nc_u32_e32 v17, 0xfffffc10, v19
	v_lshrrev_b32_e32 v18, v12, v11
	v_cndmask_b32_e64 v2, 0, 1, vcc_lo
	v_cmp_gt_i32_e32 vcc_lo, 31, v14
	v_fmac_f16_e32 v20, v53, v13
	v_and_b32_e32 v15, 0xffff, v15
	v_lshlrev_b32_e32 v12, v12, v18
	v_lshl_or_b32 v2, v2, 9, 0x7c00
	v_cndmask_b32_e32 v10, 0x7c00, v10, vcc_lo
	v_cmp_eq_u32_e32 vcc_lo, 0x40f, v14
	v_and_or_b32 v8, 0x1ff, v9, v8
	v_lshrrev_b32_e32 v14, 16, v3
	v_bfe_u32 v19, v9, 20, 11
	v_mul_f16_sdwa v13, v53, v13 dst_sel:DWORD dst_unused:UNUSED_PAD src0_sel:WORD_1 src1_sel:DWORD
	v_cndmask_b32_e32 v10, v10, v2, vcc_lo
	v_cmp_ne_u32_e32 vcc_lo, v12, v11
	v_cvt_f32_f16_e32 v2, v20
	v_lshrrev_b32_e32 v12, 8, v9
	v_fma_f16 v13, v53, v16, -v13
	v_and_or_b32 v10, 0x8000, v14, v10
	v_cndmask_b32_e64 v11, 0, 1, vcc_lo
	v_cmp_ne_u32_e32 vcc_lo, 0, v8
	v_cvt_f64_f32_e32 v[2:3], v2
	v_lshl_or_b32 v14, v17, 12, v4
	v_lshl_or_b32 v20, v10, 16, v15
	v_or_b32_e32 v11, v18, v11
	v_cndmask_b32_e64 v8, 0, 1, vcc_lo
	v_cmp_gt_i32_e32 vcc_lo, 1, v17
	v_cvt_f32_f16_e32 v13, v13
	v_add_nc_u32_e32 v16, 0xfffffc10, v19
	v_lshrrev_b32_e32 v9, 16, v9
	v_and_or_b32 v8, 0xffe, v12, v8
	v_sub_nc_u32_e32 v12, 0x3f1, v19
	v_cndmask_b32_e32 v14, v14, v11, vcc_lo
	v_add_co_u32 v6, vcc_lo, v6, s5
	v_or_b32_e32 v18, 0x1000, v8
	v_med3_i32 v12, v12, 0, 13
	v_add_co_ci_u32_e32 v7, vcc_lo, s4, v7, vcc_lo
	v_and_b32_e32 v15, 7, v14
	v_add_co_u32 v10, vcc_lo, v6, s5
	v_lshrrev_b32_e32 v21, v12, v18
	v_mul_f64 v[2:3], v[2:3], s[2:3]
	v_add_co_ci_u32_e32 v11, vcc_lo, s4, v7, vcc_lo
	v_cmp_lt_i32_e32 vcc_lo, 5, v15
	v_lshlrev_b32_e32 v12, v12, v21
	v_cmp_eq_u32_e64 s0, 3, v15
	v_lshrrev_b32_e32 v14, 2, v14
	v_cmp_ne_u32_e64 s1, v12, v18
	s_or_b32 vcc_lo, s0, vcc_lo
	v_add_co_ci_u32_e32 v18, vcc_lo, 0, v14, vcc_lo
	v_cndmask_b32_e64 v12, 0, 1, s1
	v_cmp_ne_u32_e32 vcc_lo, 0, v4
	ds_read2_b32 v[14:15], v1 offset0:124 offset1:209
	global_store_dword v[6:7], v22, off
	global_store_dword v[10:11], v20, off
	v_or_b32_e32 v19, v21, v12
	v_cvt_f64_f32_e32 v[12:13], v13
	v_lshl_or_b32 v21, v16, 12, v8
	v_cndmask_b32_e64 v1, 0, 1, vcc_lo
	v_cmp_gt_i32_e32 vcc_lo, 1, v16
	v_and_or_b32 v2, 0x1ff, v3, v2
	v_bfe_u32 v23, v3, 20, 11
	v_lshl_or_b32 v1, v1, 9, 0x7c00
	v_cndmask_b32_e32 v4, v21, v19, vcc_lo
	v_cmp_gt_i32_e32 vcc_lo, 31, v17
	v_lshrrev_b32_e32 v21, 8, v3
	v_lshrrev_b32_e32 v3, 16, v3
	v_and_b32_e32 v19, 7, v4
	v_cndmask_b32_e32 v18, 0x7c00, v18, vcc_lo
	v_cmp_ne_u32_e32 vcc_lo, 0, v2
	v_lshrrev_b32_e32 v4, 2, v4
	v_cmp_eq_u32_e64 s0, 3, v19
	v_cndmask_b32_e64 v2, 0, 1, vcc_lo
	v_cmp_eq_u32_e32 vcc_lo, 0x40f, v17
	v_cndmask_b32_e32 v17, v18, v1, vcc_lo
	v_cmp_lt_i32_e32 vcc_lo, 5, v19
	v_and_or_b32 v18, 0xffe, v21, v2
	v_mul_f64 v[1:2], v[12:13], s[2:3]
	v_sub_nc_u32_e32 v21, 0x3f1, v23
	s_waitcnt lgkmcnt(0)
	v_lshrrev_b32_e32 v12, 16, v14
	s_or_b32 vcc_lo, s0, vcc_lo
	v_or_b32_e32 v13, 0x1000, v18
	v_add_co_ci_u32_e32 v4, vcc_lo, 0, v4, vcc_lo
	v_med3_i32 v19, v21, 0, 13
	v_cmp_ne_u32_e32 vcc_lo, 0, v8
	v_mul_f16_sdwa v21, v52, v12 dst_sel:DWORD dst_unused:UNUSED_PAD src0_sel:WORD_1 src1_sel:DWORD
	v_and_or_b32 v17, 0x8000, v5, v17
	v_lshrrev_b32_e32 v24, v19, v13
	v_cndmask_b32_e64 v8, 0, 1, vcc_lo
	v_cmp_gt_i32_e32 vcc_lo, 31, v16
	v_fmac_f16_e32 v21, v52, v14
	v_and_b32_e32 v17, 0xffff, v17
	v_lshlrev_b32_e32 v19, v19, v24
	v_lshl_or_b32 v8, v8, 9, 0x7c00
	v_cndmask_b32_e32 v4, 0x7c00, v4, vcc_lo
	v_cmp_eq_u32_e32 vcc_lo, 0x40f, v16
	v_cvt_f32_f16_e32 v5, v21
	v_and_or_b32 v1, 0x1ff, v2, v1
	v_add_nc_u32_e32 v16, 0xfffffc10, v23
	v_bfe_u32 v21, v2, 20, 11
	v_cndmask_b32_e32 v8, v4, v8, vcc_lo
	v_cmp_ne_u32_e32 vcc_lo, v19, v13
	v_cvt_f64_f32_e32 v[4:5], v5
	v_lshrrev_b32_e32 v19, 8, v2
	v_and_or_b32 v8, 0x8000, v9, v8
	v_cndmask_b32_e64 v13, 0, 1, vcc_lo
	v_cmp_ne_u32_e32 vcc_lo, 0, v1
	v_lshl_or_b32 v17, v8, 16, v17
	v_or_b32_e32 v9, v24, v13
	v_cndmask_b32_e64 v1, 0, 1, vcc_lo
	v_lshl_or_b32 v13, v16, 12, v18
	v_cmp_gt_i32_e32 vcc_lo, 1, v16
	v_and_or_b32 v1, 0xffe, v19, v1
	v_sub_nc_u32_e32 v19, 0x3f1, v21
	v_cndmask_b32_e32 v9, v13, v9, vcc_lo
	v_add_co_u32 v6, vcc_lo, v10, s5
	v_or_b32_e32 v13, 0x1000, v1
	v_med3_i32 v19, v19, 0, 13
	v_and_b32_e32 v8, 7, v9
	v_mul_f64 v[4:5], v[4:5], s[2:3]
	v_add_co_ci_u32_e32 v7, vcc_lo, s4, v11, vcc_lo
	v_lshrrev_b32_e32 v20, v19, v13
	v_cmp_lt_i32_e32 vcc_lo, 5, v8
	v_cmp_eq_u32_e64 s0, 3, v8
	v_mul_f16_sdwa v11, v52, v14 dst_sel:DWORD dst_unused:UNUSED_PAD src0_sel:WORD_1 src1_sel:DWORD
	v_lshrrev_b32_e32 v8, 2, v9
	v_lshlrev_b32_e32 v10, v19, v20
	global_store_dword v[6:7], v17, off
	s_or_b32 vcc_lo, s0, vcc_lo
	v_cmp_ne_u32_e64 s1, v10, v13
	v_fma_f16 v10, v52, v12, -v11
	v_add_co_ci_u32_e32 v12, vcc_lo, 0, v8, vcc_lo
	v_add_nc_u32_e32 v11, 0xfffffc10, v21
	v_cndmask_b32_e64 v9, 0, 1, s1
	v_cmp_ne_u32_e32 vcc_lo, 0, v18
	v_cvt_f32_f16_e32 v8, v10
	v_lshl_or_b32 v13, v11, 12, v1
	v_or_b32_e32 v10, v20, v9
	v_cndmask_b32_e64 v14, 0, 1, vcc_lo
	v_cmp_gt_i32_e32 vcc_lo, 1, v11
	v_cvt_f64_f32_e32 v[8:9], v8
	v_and_or_b32 v4, 0x1ff, v5, v4
	v_lshrrev_b32_e32 v18, 8, v5
	v_bfe_u32 v19, v5, 20, 11
	v_cndmask_b32_e32 v10, v13, v10, vcc_lo
	v_cmp_gt_i32_e32 vcc_lo, 31, v16
	v_lshl_or_b32 v13, v14, 9, 0x7c00
	v_lshrrev_b32_e32 v5, 16, v5
	v_and_b32_e32 v14, 7, v10
	v_cndmask_b32_e32 v12, 0x7c00, v12, vcc_lo
	v_cmp_ne_u32_e32 vcc_lo, 0, v4
	v_lshrrev_b32_e32 v10, 2, v10
	v_cmp_eq_u32_e64 s0, 3, v14
	v_cndmask_b32_e64 v4, 0, 1, vcc_lo
	v_cmp_eq_u32_e32 vcc_lo, 0x40f, v16
	v_cndmask_b32_e32 v12, v12, v13, vcc_lo
	v_cmp_lt_i32_e32 vcc_lo, 5, v14
	v_lshrrev_b32_e32 v14, 16, v15
	v_mul_f64 v[8:9], v[8:9], s[2:3]
	v_and_or_b32 v13, 0xffe, v18, v4
	v_sub_nc_u32_e32 v4, 0x3f1, v19
	s_or_b32 vcc_lo, s0, vcc_lo
	v_mul_f16_sdwa v18, v51, v14 dst_sel:DWORD dst_unused:UNUSED_PAD src0_sel:WORD_1 src1_sel:DWORD
	v_add_co_ci_u32_e32 v10, vcc_lo, 0, v10, vcc_lo
	v_cmp_ne_u32_e32 vcc_lo, 0, v1
	v_or_b32_e32 v16, 0x1000, v13
	v_med3_i32 v4, v4, 0, 13
	v_fmac_f16_e32 v18, v51, v15
	v_and_or_b32 v3, 0x8000, v3, v12
	v_cndmask_b32_e64 v1, 0, 1, vcc_lo
	v_cmp_gt_i32_e32 vcc_lo, 31, v11
	v_lshrrev_b32_e32 v20, v4, v16
	v_cvt_f32_f16_e32 v18, v18
	v_and_b32_e32 v3, 0xffff, v3
	v_lshl_or_b32 v1, v1, 9, 0x7c00
	v_cndmask_b32_e32 v10, 0x7c00, v10, vcc_lo
	v_cmp_eq_u32_e32 vcc_lo, 0x40f, v11
	v_lshlrev_b32_e32 v4, v4, v20
	v_lshrrev_b32_e32 v11, 16, v2
	v_and_or_b32 v8, 0x1ff, v9, v8
	v_lshrrev_b32_e32 v12, 8, v9
	v_cndmask_b32_e32 v10, v10, v1, vcc_lo
	v_cvt_f64_f32_e32 v[1:2], v18
	v_cmp_ne_u32_e32 vcc_lo, v4, v16
	v_add_nc_u32_e32 v16, 0xfffffc10, v19
	v_bfe_u32 v18, v9, 20, 11
	v_and_or_b32 v10, 0x8000, v11, v10
	v_cndmask_b32_e64 v4, 0, 1, vcc_lo
	v_cmp_ne_u32_e32 vcc_lo, 0, v8
	v_lshl_or_b32 v11, v16, 12, v13
	v_lshl_or_b32 v10, v10, 16, v3
	v_or_b32_e32 v4, v20, v4
	v_cndmask_b32_e64 v8, 0, 1, vcc_lo
	v_cmp_gt_i32_e32 vcc_lo, 1, v16
	v_and_or_b32 v8, 0xffe, v12, v8
	v_cndmask_b32_e32 v11, v11, v4, vcc_lo
	v_sub_nc_u32_e32 v4, 0x3f1, v18
	v_add_co_u32 v3, vcc_lo, v6, s5
	v_mul_f64 v[1:2], v[1:2], s[2:3]
	v_or_b32_e32 v17, 0x1000, v8
	v_med3_i32 v19, v4, 0, 13
	v_and_b32_e32 v12, 7, v11
	v_add_co_ci_u32_e32 v4, vcc_lo, s4, v7, vcc_lo
	v_lshrrev_b32_e32 v7, 2, v11
	v_lshrrev_b32_e32 v20, v19, v17
	v_cmp_lt_i32_e32 vcc_lo, 5, v12
	v_cmp_eq_u32_e64 s0, 3, v12
	v_mul_f16_sdwa v6, v51, v15 dst_sel:DWORD dst_unused:UNUSED_PAD src0_sel:WORD_1 src1_sel:DWORD
	global_store_dword v[3:4], v10, off
	v_lshlrev_b32_e32 v10, v19, v20
	s_or_b32 vcc_lo, s0, vcc_lo
	v_fma_f16 v11, v51, v14, -v6
	v_add_co_ci_u32_e32 v12, vcc_lo, 0, v7, vcc_lo
	v_cmp_ne_u32_e32 vcc_lo, v10, v17
	ds_read2_b32 v[6:7], v0 offset0:166 offset1:251
	v_cvt_f32_f16_e32 v0, v11
	v_add_nc_u32_e32 v14, 0xfffffc10, v18
	v_and_or_b32 v11, 0x1ff, v2, v1
	v_cndmask_b32_e64 v10, 0, 1, vcc_lo
	v_cmp_gt_i32_e32 vcc_lo, 31, v16
	v_cvt_f64_f32_e32 v[0:1], v0
	v_lshl_or_b32 v15, v14, 12, v8
	v_lshrrev_b32_e32 v17, 8, v2
	v_or_b32_e32 v10, v20, v10
	v_cndmask_b32_e32 v12, 0x7c00, v12, vcc_lo
	v_cmp_ne_u32_e32 vcc_lo, 0, v11
	v_bfe_u32 v18, v2, 20, 11
	v_cndmask_b32_e64 v11, 0, 1, vcc_lo
	v_cmp_ne_u32_e32 vcc_lo, 0, v13
	v_cndmask_b32_e64 v13, 0, 1, vcc_lo
	v_cmp_gt_i32_e32 vcc_lo, 1, v14
	v_lshl_or_b32 v13, v13, 9, 0x7c00
	v_cndmask_b32_e32 v10, v15, v10, vcc_lo
	v_and_or_b32 v15, 0xffe, v17, v11
	s_waitcnt lgkmcnt(0)
	v_lshrrev_b32_e32 v17, 16, v6
	v_sub_nc_u32_e32 v11, 0x3f1, v18
	v_cmp_eq_u32_e32 vcc_lo, 0x40f, v16
	v_and_b32_e32 v19, 7, v10
	v_or_b32_e32 v20, 0x1000, v15
	v_mul_f16_sdwa v21, v50, v17 dst_sel:DWORD dst_unused:UNUSED_PAD src0_sel:WORD_1 src1_sel:DWORD
	v_med3_i32 v11, v11, 0, 13
	v_cndmask_b32_e32 v12, v12, v13, vcc_lo
	v_cmp_lt_i32_e32 vcc_lo, 5, v19
	v_cmp_eq_u32_e64 s0, 3, v19
	v_fmac_f16_e32 v21, v50, v6
	v_lshrrev_b32_e32 v10, 2, v10
	v_lshrrev_b32_e32 v13, v11, v20
	v_mul_f64 v[0:1], v[0:1], s[2:3]
	s_or_b32 vcc_lo, s0, vcc_lo
	v_cvt_f32_f16_e32 v16, v21
	v_add_co_ci_u32_e32 v21, vcc_lo, 0, v10, vcc_lo
	v_lshlrev_b32_e32 v19, v11, v13
	v_cmp_ne_u32_e32 vcc_lo, 0, v8
	v_cvt_f64_f32_e32 v[10:11], v16
	v_add_nc_u32_e32 v18, 0xfffffc10, v18
	v_and_or_b32 v5, 0x8000, v5, v12
	v_mul_f16_sdwa v6, v50, v6 dst_sel:DWORD dst_unused:UNUSED_PAD src0_sel:WORD_1 src1_sel:DWORD
	v_cndmask_b32_e64 v8, 0, 1, vcc_lo
	v_cmp_ne_u32_e32 vcc_lo, v19, v20
	v_lshrrev_b32_e32 v20, 16, v9
	v_and_b32_e32 v5, 0xffff, v5
	v_fma_f16 v6, v50, v17, -v6
	v_lshl_or_b32 v8, v8, 9, 0x7c00
	v_cndmask_b32_e64 v16, 0, 1, vcc_lo
	v_cmp_gt_i32_e32 vcc_lo, 31, v14
	v_cvt_f32_f16_e32 v6, v6
	v_or_b32_e32 v13, v13, v16
	v_cndmask_b32_e32 v19, 0x7c00, v21, vcc_lo
	v_cmp_eq_u32_e32 vcc_lo, 0x40f, v14
	v_lshl_or_b32 v16, v18, 12, v15
	v_and_or_b32 v0, 0x1ff, v1, v0
	v_cndmask_b32_e32 v14, v19, v8, vcc_lo
	v_cmp_gt_i32_e32 vcc_lo, 1, v18
	v_bfe_u32 v19, v1, 20, 11
	v_mul_f64 v[8:9], v[10:11], s[2:3]
	v_and_or_b32 v11, 0x8000, v20, v14
	v_cndmask_b32_e32 v13, v16, v13, vcc_lo
	v_cmp_ne_u32_e32 vcc_lo, 0, v0
	v_lshrrev_b32_e32 v16, 8, v1
	v_sub_nc_u32_e32 v10, 0x3f1, v19
	v_lshrrev_b32_e32 v20, 16, v7
	v_and_b32_e32 v21, 7, v13
	v_cndmask_b32_e64 v0, 0, 1, vcc_lo
	v_lshrrev_b32_e32 v13, 2, v13
	v_med3_i32 v10, v10, 0, 13
	v_cmp_lt_i32_e32 vcc_lo, 5, v21
	v_and_or_b32 v0, 0xffe, v16, v0
	v_cmp_eq_u32_e64 s0, 3, v21
	v_lshl_or_b32 v16, v11, 16, v5
	v_or_b32_e32 v12, 0x1000, v0
	s_or_b32 vcc_lo, s0, vcc_lo
	v_add_co_ci_u32_e32 v13, vcc_lo, 0, v13, vcc_lo
	v_lshrrev_b32_e32 v14, v10, v12
	v_cmp_gt_i32_e32 vcc_lo, 31, v18
	v_and_or_b32 v8, 0x1ff, v9, v8
	v_bfe_u32 v17, v9, 20, 11
	v_lshlrev_b32_e32 v5, v10, v14
	v_cndmask_b32_e32 v10, 0x7c00, v13, vcc_lo
	v_lshrrev_b32_e32 v13, 8, v9
	v_lshrrev_b32_e32 v9, 16, v9
	v_cmp_ne_u32_e32 vcc_lo, v5, v12
	v_cvt_f64_f32_e32 v[5:6], v6
	v_add_nc_u32_e32 v12, 0xfffffc10, v19
	v_cndmask_b32_e64 v11, 0, 1, vcc_lo
	v_cmp_ne_u32_e32 vcc_lo, 0, v8
	v_or_b32_e32 v11, v14, v11
	v_cndmask_b32_e64 v8, 0, 1, vcc_lo
	v_cmp_ne_u32_e32 vcc_lo, 0, v15
	v_lshl_or_b32 v14, v12, 12, v0
	v_and_or_b32 v8, 0xffe, v13, v8
	v_cndmask_b32_e64 v15, 0, 1, vcc_lo
	v_sub_nc_u32_e32 v13, 0x3f1, v17
	v_cmp_gt_i32_e32 vcc_lo, 1, v12
	v_lshl_or_b32 v15, v15, 9, 0x7c00
	v_med3_i32 v13, v13, 0, 13
	v_cndmask_b32_e32 v11, v14, v11, vcc_lo
	v_or_b32_e32 v14, 0x1000, v8
	v_cmp_eq_u32_e32 vcc_lo, 0x40f, v18
	v_mul_f64 v[5:6], v[5:6], s[2:3]
	v_and_b32_e32 v18, 7, v11
	v_lshrrev_b32_e32 v19, v13, v14
	v_cndmask_b32_e32 v10, v10, v15, vcc_lo
	v_lshrrev_b32_e32 v15, 16, v2
	v_add_co_u32 v2, vcc_lo, v3, s5
	v_add_co_ci_u32_e32 v3, vcc_lo, s4, v4, vcc_lo
	v_mul_f16_sdwa v4, v49, v20 dst_sel:DWORD dst_unused:UNUSED_PAD src0_sel:WORD_1 src1_sel:DWORD
	v_and_or_b32 v15, 0x8000, v15, v10
	v_lshlrev_b32_e32 v10, v13, v19
	v_cmp_lt_i32_e32 vcc_lo, 5, v18
	v_cmp_eq_u32_e64 s0, 3, v18
	v_fmac_f16_e32 v4, v49, v7
	v_lshrrev_b32_e32 v11, 2, v11
	v_cmp_ne_u32_e64 s1, v10, v14
	v_add_nc_u32_e32 v13, 0xfffffc10, v17
	s_or_b32 vcc_lo, s0, vcc_lo
	v_cvt_f32_f16_e32 v4, v4
	v_add_co_ci_u32_e32 v14, vcc_lo, 0, v11, vcc_lo
	v_cndmask_b32_e64 v10, 0, 1, s1
	v_cmp_ne_u32_e32 vcc_lo, 0, v0
	v_and_or_b32 v5, 0x1ff, v6, v5
	v_bfe_u32 v18, v6, 20, 11
	v_mul_f16_sdwa v7, v49, v7 dst_sel:DWORD dst_unused:UNUSED_PAD src0_sel:WORD_1 src1_sel:DWORD
	v_or_b32_e32 v17, v19, v10
	v_cvt_f64_f32_e32 v[10:11], v4
	v_lshl_or_b32 v4, v13, 12, v8
	v_cndmask_b32_e64 v0, 0, 1, vcc_lo
	v_cmp_gt_i32_e32 vcc_lo, 1, v13
	v_fma_f16 v7, v49, v20, -v7
	v_lshl_or_b32 v0, v0, 9, 0x7c00
	v_cndmask_b32_e32 v4, v4, v17, vcc_lo
	v_cmp_ne_u32_e32 vcc_lo, 0, v5
	v_lshrrev_b32_e32 v17, 8, v6
	v_lshrrev_b32_e32 v6, 16, v6
	v_and_b32_e32 v19, 7, v4
	v_cndmask_b32_e64 v5, 0, 1, vcc_lo
	v_cmp_gt_i32_e32 vcc_lo, 31, v12
	v_lshrrev_b32_e32 v4, 2, v4
	v_cmp_eq_u32_e64 s0, 3, v19
	v_and_or_b32 v17, 0xffe, v17, v5
	v_cndmask_b32_e32 v14, 0x7c00, v14, vcc_lo
	v_cmp_eq_u32_e32 vcc_lo, 0x40f, v12
	v_sub_nc_u32_e32 v12, 0x3f1, v18
	v_or_b32_e32 v21, 0x1000, v17
	v_cndmask_b32_e32 v5, v14, v0, vcc_lo
	v_cmp_lt_i32_e32 vcc_lo, 5, v19
	v_lshrrev_b32_e32 v14, 16, v1
	v_mul_f64 v[0:1], v[10:11], s[2:3]
	v_med3_i32 v10, v12, 0, 13
	v_and_b32_e32 v11, 0xffff, v15
	s_or_b32 vcc_lo, s0, vcc_lo
	v_and_or_b32 v5, 0x8000, v14, v5
	v_add_co_ci_u32_e32 v4, vcc_lo, 0, v4, vcc_lo
	v_lshrrev_b32_e32 v12, v10, v21
	v_cmp_ne_u32_e32 vcc_lo, 0, v8
	v_lshl_or_b32 v14, v5, 16, v11
	ds_read_b32 v11, v47 offset:5440
	v_add_nc_u32_e32 v15, 0xfffffc10, v18
	v_lshlrev_b32_e32 v5, v10, v12
	v_cndmask_b32_e64 v8, 0, 1, vcc_lo
	v_cmp_gt_i32_e32 vcc_lo, 31, v13
	v_lshl_or_b32 v8, v8, 9, 0x7c00
	v_cndmask_b32_e32 v4, 0x7c00, v4, vcc_lo
	v_cmp_ne_u32_e32 vcc_lo, v5, v21
	v_and_or_b32 v0, 0x1ff, v1, v0
	v_cndmask_b32_e64 v5, 0, 1, vcc_lo
	v_cmp_eq_u32_e32 vcc_lo, 0x40f, v13
	v_bfe_u32 v13, v1, 20, 11
	s_waitcnt lgkmcnt(0)
	v_lshrrev_b32_e32 v18, 16, v11
	v_cndmask_b32_e32 v10, v4, v8, vcc_lo
	v_cmp_ne_u32_e32 vcc_lo, 0, v0
	v_cvt_f32_f16_e32 v4, v7
	v_lshrrev_b32_e32 v7, 8, v1
	v_or_b32_e32 v8, v12, v5
	v_lshl_or_b32 v12, v15, 12, v17
	v_cndmask_b32_e64 v0, 0, 1, vcc_lo
	v_cvt_f64_f32_e32 v[4:5], v4
	v_cmp_gt_i32_e32 vcc_lo, 1, v15
	v_mul_f16_sdwa v22, v48, v18 dst_sel:DWORD dst_unused:UNUSED_PAD src0_sel:WORD_1 src1_sel:DWORD
	v_and_or_b32 v23, 0x8000, v9, v10
	v_and_or_b32 v0, 0xffe, v7, v0
	v_sub_nc_u32_e32 v7, 0x3f1, v13
	v_cndmask_b32_e32 v12, v12, v8, vcc_lo
	v_fmac_f16_e32 v22, v48, v11
	v_add_nc_u32_e32 v13, 0xfffffc10, v13
	v_or_b32_e32 v20, 0x1000, v0
	v_med3_i32 v21, v7, 0, 13
	v_and_b32_e32 v19, 7, v12
	v_add_co_u32 v7, vcc_lo, v2, s5
	v_add_co_ci_u32_e32 v8, vcc_lo, s4, v3, vcc_lo
	v_lshrrev_b32_e32 v24, v21, v20
	v_cmp_lt_i32_e32 vcc_lo, 5, v19
	v_cmp_eq_u32_e64 s0, 3, v19
	v_lshrrev_b32_e32 v9, 2, v12
	v_cvt_f32_f16_e32 v10, v22
	v_lshlrev_b32_e32 v12, v21, v24
	v_mul_f64 v[4:5], v[4:5], s[2:3]
	s_or_b32 vcc_lo, s0, vcc_lo
	v_mul_f16_sdwa v11, v48, v11 dst_sel:DWORD dst_unused:UNUSED_PAD src0_sel:WORD_1 src1_sel:DWORD
	v_add_co_ci_u32_e32 v19, vcc_lo, 0, v9, vcc_lo
	v_cmp_ne_u32_e32 vcc_lo, v12, v20
	v_cvt_f64_f32_e32 v[9:10], v10
	v_lshl_or_b32 v20, v13, 12, v0
	v_fma_f16 v11, v48, v18, -v11
	v_lshrrev_b32_e32 v1, 16, v1
	v_cndmask_b32_e64 v12, 0, 1, vcc_lo
	v_cmp_ne_u32_e32 vcc_lo, 0, v17
	v_cvt_f32_f16_e32 v11, v11
	v_or_b32_e32 v12, v24, v12
	v_cndmask_b32_e64 v17, 0, 1, vcc_lo
	v_cmp_gt_i32_e32 vcc_lo, 31, v15
	v_lshl_or_b32 v17, v17, 9, 0x7c00
	v_cndmask_b32_e32 v18, 0x7c00, v19, vcc_lo
	v_cmp_gt_i32_e32 vcc_lo, 1, v13
	v_and_or_b32 v4, 0x1ff, v5, v4
	v_cndmask_b32_e32 v19, v20, v12, vcc_lo
	v_cmp_eq_u32_e32 vcc_lo, 0x40f, v15
	v_mul_f64 v[9:10], v[9:10], s[2:3]
	v_cvt_f64_f32_e32 v[11:12], v11
	v_bfe_u32 v20, v5, 20, 11
	v_cndmask_b32_e32 v15, v18, v17, vcc_lo
	v_cmp_ne_u32_e32 vcc_lo, 0, v4
	v_and_b32_e32 v17, 7, v19
	v_lshrrev_b32_e32 v18, 8, v5
	v_lshrrev_b32_e32 v5, 16, v5
	v_and_or_b32 v6, 0x8000, v6, v15
	v_and_b32_e32 v15, 0xffff, v23
	v_cndmask_b32_e64 v4, 0, 1, vcc_lo
	v_cmp_lt_i32_e32 vcc_lo, 5, v17
	v_cmp_eq_u32_e64 s0, 3, v17
	v_lshl_or_b32 v6, v6, 16, v15
	v_lshrrev_b32_e32 v15, 2, v19
	v_and_or_b32 v4, 0xffe, v18, v4
	v_sub_nc_u32_e32 v18, 0x3f1, v20
	s_or_b32 vcc_lo, s0, vcc_lo
	v_add_co_ci_u32_e32 v15, vcc_lo, 0, v15, vcc_lo
	v_or_b32_e32 v17, 0x1000, v4
	v_med3_i32 v18, v18, 0, 13
	v_cmp_ne_u32_e32 vcc_lo, 0, v0
	v_and_or_b32 v9, 0x1ff, v10, v9
	v_mul_f64 v[11:12], v[11:12], s[2:3]
	v_lshrrev_b32_e32 v21, 8, v10
	v_lshrrev_b32_e32 v19, v18, v17
	v_cndmask_b32_e64 v0, 0, 1, vcc_lo
	v_cmp_gt_i32_e32 vcc_lo, 31, v13
	v_bfe_u32 v22, v10, 20, 11
	v_lshrrev_b32_e32 v10, 16, v10
	v_lshlrev_b32_e32 v18, v18, v19
	v_lshl_or_b32 v0, v0, 9, 0x7c00
	v_cndmask_b32_e32 v15, 0x7c00, v15, vcc_lo
	v_cmp_ne_u32_e32 vcc_lo, 0, v9
	v_cndmask_b32_e64 v9, 0, 1, vcc_lo
	v_cmp_ne_u32_e32 vcc_lo, v18, v17
	v_add_nc_u32_e32 v18, 0xfffffc10, v20
	v_sub_nc_u32_e32 v20, 0x3f1, v22
	v_and_or_b32 v9, 0xffe, v21, v9
	v_cndmask_b32_e64 v17, 0, 1, vcc_lo
	v_cmp_eq_u32_e32 vcc_lo, 0x40f, v13
	v_and_or_b32 v11, 0x1ff, v12, v11
	v_bfe_u32 v21, v12, 20, 11
	v_or_b32_e32 v13, v19, v17
	v_cndmask_b32_e32 v0, v15, v0, vcc_lo
	v_lshl_or_b32 v15, v18, 12, v4
	v_or_b32_e32 v17, 0x1000, v9
	v_med3_i32 v19, v20, 0, 13
	v_cmp_gt_i32_e32 vcc_lo, 1, v18
	v_lshrrev_b32_e32 v20, 8, v12
	v_and_or_b32 v0, 0x8000, v1, v0
	v_cndmask_b32_e32 v13, v15, v13, vcc_lo
	v_lshrrev_b32_e32 v15, v19, v17
	v_cmp_ne_u32_e32 vcc_lo, 0, v11
	v_and_b32_e32 v23, 7, v13
	v_lshlrev_b32_e32 v19, v19, v15
	v_cndmask_b32_e64 v11, 0, 1, vcc_lo
	v_lshrrev_b32_e32 v13, 2, v13
	v_cmp_lt_i32_e32 vcc_lo, 5, v23
	v_cmp_ne_u32_e64 s0, v19, v17
	v_and_or_b32 v1, 0xffe, v20, v11
	v_sub_nc_u32_e32 v11, 0x3f1, v21
	v_add_nc_u32_e32 v20, 0xfffffc10, v22
	v_cndmask_b32_e64 v17, 0, 1, s0
	v_cmp_eq_u32_e64 s0, 3, v23
	v_or_b32_e32 v19, 0x1000, v1
	v_med3_i32 v11, v11, 0, 13
	v_lshl_or_b32 v22, v20, 12, v9
	v_or_b32_e32 v15, v15, v17
	s_or_b32 vcc_lo, s0, vcc_lo
	v_add_co_ci_u32_e32 v13, vcc_lo, 0, v13, vcc_lo
	v_lshrrev_b32_e32 v17, v11, v19
	v_cmp_gt_i32_e32 vcc_lo, 1, v20
	v_lshlrev_b32_e32 v11, v11, v17
	v_cndmask_b32_e32 v15, v22, v15, vcc_lo
	v_cmp_ne_u32_e32 vcc_lo, 0, v4
	v_cndmask_b32_e64 v4, 0, 1, vcc_lo
	v_cmp_ne_u32_e32 vcc_lo, v11, v19
	v_add_nc_u32_e32 v19, 0xfffffc10, v21
	v_and_b32_e32 v21, 7, v15
	v_lshl_or_b32 v4, v4, 9, 0x7c00
	v_cndmask_b32_e64 v11, 0, 1, vcc_lo
	v_cmp_gt_i32_e32 vcc_lo, 31, v18
	v_cmp_gt_i32_e64 s1, 1, v19
	v_cmp_eq_u32_e64 s0, 3, v21
	v_or_b32_e32 v11, v17, v11
	v_lshl_or_b32 v17, v19, 12, v1
	v_cndmask_b32_e32 v13, 0x7c00, v13, vcc_lo
	v_cmp_lt_i32_e32 vcc_lo, 5, v21
	v_cndmask_b32_e64 v11, v17, v11, s1
	v_cmp_eq_u32_e64 s1, 0x40f, v18
	s_or_b32 vcc_lo, s0, vcc_lo
	v_cndmask_b32_e64 v4, v13, v4, s1
	v_lshrrev_b32_e32 v13, 2, v15
	v_and_b32_e32 v15, 7, v11
	v_lshrrev_b32_e32 v11, 2, v11
	v_cmp_gt_i32_e64 s1, 31, v20
	v_and_or_b32 v4, 0x8000, v5, v4
	v_add_co_ci_u32_e32 v13, vcc_lo, 0, v13, vcc_lo
	v_cmp_ne_u32_e32 vcc_lo, 0, v9
	v_cmp_eq_u32_e64 s0, 3, v15
	v_and_b32_e32 v5, 0xffff, v0
	v_cndmask_b32_e64 v13, 0x7c00, v13, s1
	v_cndmask_b32_e64 v9, 0, 1, vcc_lo
	v_cmp_lt_i32_e32 vcc_lo, 5, v15
	v_lshl_or_b32 v9, v9, 9, 0x7c00
	s_or_b32 vcc_lo, s0, vcc_lo
	v_add_co_ci_u32_e32 v11, vcc_lo, 0, v11, vcc_lo
	v_cmp_ne_u32_e32 vcc_lo, 0, v1
	v_cndmask_b32_e64 v1, 0, 1, vcc_lo
	v_cmp_eq_u32_e32 vcc_lo, 0x40f, v20
	v_lshl_or_b32 v1, v1, 9, 0x7c00
	v_cndmask_b32_e32 v9, v13, v9, vcc_lo
	v_cmp_gt_i32_e32 vcc_lo, 31, v19
	v_and_or_b32 v9, 0x8000, v10, v9
	v_cndmask_b32_e32 v11, 0x7c00, v11, vcc_lo
	v_cmp_eq_u32_e32 vcc_lo, 0x40f, v19
	v_and_b32_e32 v9, 0xffff, v9
	v_cndmask_b32_e32 v10, v11, v1, vcc_lo
	v_lshrrev_b32_e32 v11, 16, v12
	v_add_co_u32 v0, vcc_lo, v7, s5
	v_add_co_ci_u32_e32 v1, vcc_lo, s4, v8, vcc_lo
	v_lshl_or_b32 v12, v4, 16, v5
	v_and_or_b32 v10, 0x8000, v11, v10
	v_add_co_u32 v4, vcc_lo, v0, s5
	v_add_co_ci_u32_e32 v5, vcc_lo, s4, v1, vcc_lo
	v_lshl_or_b32 v11, v10, 16, v9
	v_add_co_u32 v9, vcc_lo, v4, s5
	v_add_co_ci_u32_e32 v10, vcc_lo, s4, v5, vcc_lo
	global_store_dword v[2:3], v16, off
	global_store_dword v[7:8], v14, off
	;; [unrolled: 1-line block ×5, first 2 shown]
.LBB0_10:
	s_endpgm
	.section	.rodata,"a",@progbits
	.p2align	6, 0x0
	.amdhsa_kernel bluestein_single_back_len1445_dim1_half_op_CI_CI
		.amdhsa_group_segment_fixed_size 5780
		.amdhsa_private_segment_fixed_size 0
		.amdhsa_kernarg_size 104
		.amdhsa_user_sgpr_count 6
		.amdhsa_user_sgpr_private_segment_buffer 1
		.amdhsa_user_sgpr_dispatch_ptr 0
		.amdhsa_user_sgpr_queue_ptr 0
		.amdhsa_user_sgpr_kernarg_segment_ptr 1
		.amdhsa_user_sgpr_dispatch_id 0
		.amdhsa_user_sgpr_flat_scratch_init 0
		.amdhsa_user_sgpr_private_segment_size 0
		.amdhsa_wavefront_size32 1
		.amdhsa_uses_dynamic_stack 0
		.amdhsa_system_sgpr_private_segment_wavefront_offset 0
		.amdhsa_system_sgpr_workgroup_id_x 1
		.amdhsa_system_sgpr_workgroup_id_y 0
		.amdhsa_system_sgpr_workgroup_id_z 0
		.amdhsa_system_sgpr_workgroup_info 0
		.amdhsa_system_vgpr_workitem_id 0
		.amdhsa_next_free_vgpr 214
		.amdhsa_next_free_sgpr 20
		.amdhsa_reserve_vcc 1
		.amdhsa_reserve_flat_scratch 0
		.amdhsa_float_round_mode_32 0
		.amdhsa_float_round_mode_16_64 0
		.amdhsa_float_denorm_mode_32 3
		.amdhsa_float_denorm_mode_16_64 3
		.amdhsa_dx10_clamp 1
		.amdhsa_ieee_mode 1
		.amdhsa_fp16_overflow 0
		.amdhsa_workgroup_processor_mode 1
		.amdhsa_memory_ordered 1
		.amdhsa_forward_progress 0
		.amdhsa_shared_vgpr_count 0
		.amdhsa_exception_fp_ieee_invalid_op 0
		.amdhsa_exception_fp_denorm_src 0
		.amdhsa_exception_fp_ieee_div_zero 0
		.amdhsa_exception_fp_ieee_overflow 0
		.amdhsa_exception_fp_ieee_underflow 0
		.amdhsa_exception_fp_ieee_inexact 0
		.amdhsa_exception_int_div_zero 0
	.end_amdhsa_kernel
	.text
.Lfunc_end0:
	.size	bluestein_single_back_len1445_dim1_half_op_CI_CI, .Lfunc_end0-bluestein_single_back_len1445_dim1_half_op_CI_CI
                                        ; -- End function
	.section	.AMDGPU.csdata,"",@progbits
; Kernel info:
; codeLenInByte = 39056
; NumSgprs: 22
; NumVgprs: 214
; ScratchSize: 0
; MemoryBound: 0
; FloatMode: 240
; IeeeMode: 1
; LDSByteSize: 5780 bytes/workgroup (compile time only)
; SGPRBlocks: 2
; VGPRBlocks: 26
; NumSGPRsForWavesPerEU: 22
; NumVGPRsForWavesPerEU: 214
; Occupancy: 4
; WaveLimiterHint : 1
; COMPUTE_PGM_RSRC2:SCRATCH_EN: 0
; COMPUTE_PGM_RSRC2:USER_SGPR: 6
; COMPUTE_PGM_RSRC2:TRAP_HANDLER: 0
; COMPUTE_PGM_RSRC2:TGID_X_EN: 1
; COMPUTE_PGM_RSRC2:TGID_Y_EN: 0
; COMPUTE_PGM_RSRC2:TGID_Z_EN: 0
; COMPUTE_PGM_RSRC2:TIDIG_COMP_CNT: 0
	.text
	.p2alignl 6, 3214868480
	.fill 48, 4, 3214868480
	.type	__hip_cuid_835becce2a3283a7,@object ; @__hip_cuid_835becce2a3283a7
	.section	.bss,"aw",@nobits
	.globl	__hip_cuid_835becce2a3283a7
__hip_cuid_835becce2a3283a7:
	.byte	0                               ; 0x0
	.size	__hip_cuid_835becce2a3283a7, 1

	.ident	"AMD clang version 19.0.0git (https://github.com/RadeonOpenCompute/llvm-project roc-6.4.0 25133 c7fe45cf4b819c5991fe208aaa96edf142730f1d)"
	.section	".note.GNU-stack","",@progbits
	.addrsig
	.addrsig_sym __hip_cuid_835becce2a3283a7
	.amdgpu_metadata
---
amdhsa.kernels:
  - .args:
      - .actual_access:  read_only
        .address_space:  global
        .offset:         0
        .size:           8
        .value_kind:     global_buffer
      - .actual_access:  read_only
        .address_space:  global
        .offset:         8
        .size:           8
        .value_kind:     global_buffer
      - .actual_access:  read_only
        .address_space:  global
        .offset:         16
        .size:           8
        .value_kind:     global_buffer
      - .actual_access:  read_only
        .address_space:  global
        .offset:         24
        .size:           8
        .value_kind:     global_buffer
      - .actual_access:  read_only
        .address_space:  global
        .offset:         32
        .size:           8
        .value_kind:     global_buffer
      - .offset:         40
        .size:           8
        .value_kind:     by_value
      - .address_space:  global
        .offset:         48
        .size:           8
        .value_kind:     global_buffer
      - .address_space:  global
        .offset:         56
        .size:           8
        .value_kind:     global_buffer
      - .address_space:  global
        .offset:         64
        .size:           8
        .value_kind:     global_buffer
      - .address_space:  global
        .offset:         72
        .size:           8
        .value_kind:     global_buffer
      - .offset:         80
        .size:           4
        .value_kind:     by_value
      - .address_space:  global
        .offset:         88
        .size:           8
        .value_kind:     global_buffer
      - .address_space:  global
        .offset:         96
        .size:           8
        .value_kind:     global_buffer
    .group_segment_fixed_size: 5780
    .kernarg_segment_align: 8
    .kernarg_segment_size: 104
    .language:       OpenCL C
    .language_version:
      - 2
      - 0
    .max_flat_workgroup_size: 85
    .name:           bluestein_single_back_len1445_dim1_half_op_CI_CI
    .private_segment_fixed_size: 0
    .sgpr_count:     22
    .sgpr_spill_count: 0
    .symbol:         bluestein_single_back_len1445_dim1_half_op_CI_CI.kd
    .uniform_work_group_size: 1
    .uses_dynamic_stack: false
    .vgpr_count:     214
    .vgpr_spill_count: 0
    .wavefront_size: 32
    .workgroup_processor_mode: 1
amdhsa.target:   amdgcn-amd-amdhsa--gfx1030
amdhsa.version:
  - 1
  - 2
...

	.end_amdgpu_metadata
